;; amdgpu-corpus repo=ROCm/rocFFT kind=compiled arch=gfx906 opt=O3
	.text
	.amdgcn_target "amdgcn-amd-amdhsa--gfx906"
	.amdhsa_code_object_version 6
	.protected	bluestein_single_fwd_len1848_dim1_dp_op_CI_CI ; -- Begin function bluestein_single_fwd_len1848_dim1_dp_op_CI_CI
	.globl	bluestein_single_fwd_len1848_dim1_dp_op_CI_CI
	.p2align	8
	.type	bluestein_single_fwd_len1848_dim1_dp_op_CI_CI,@function
bluestein_single_fwd_len1848_dim1_dp_op_CI_CI: ; @bluestein_single_fwd_len1848_dim1_dp_op_CI_CI
; %bb.0:
	s_load_dwordx4 s[12:15], s[4:5], 0x28
	s_mov_b64 s[50:51], s[2:3]
	v_mul_u32_u24_e32 v1, 0x11c, v0
	s_mov_b64 s[48:49], s[0:1]
	v_add_u32_sdwa v4, s6, v1 dst_sel:DWORD dst_unused:UNUSED_PAD src0_sel:DWORD src1_sel:WORD_1
	v_mov_b32_e32 v5, 0
	s_add_u32 s48, s48, s7
	s_waitcnt lgkmcnt(0)
	v_cmp_gt_u64_e32 vcc, s[12:13], v[4:5]
	s_addc_u32 s49, s49, 0
	s_and_saveexec_b64 s[0:1], vcc
	s_cbranch_execz .LBB0_31
; %bb.1:
	s_load_dwordx4 s[0:3], s[4:5], 0x18
	s_load_dwordx2 s[16:17], s[4:5], 0x0
	v_mov_b32_e32 v5, v4
	s_waitcnt lgkmcnt(0)
	s_load_dwordx4 s[8:11], s[0:1], 0x0
	s_movk_i32 s0, 0xe7
	v_mul_lo_u16_sdwa v1, v1, s0 dst_sel:DWORD dst_unused:UNUSED_PAD src0_sel:WORD_1 src1_sel:DWORD
	v_sub_u16_e32 v66, v0, v1
	buffer_store_dword v5, off, s[48:51], 0 offset:8 ; 4-byte Folded Spill
	s_nop 0
	buffer_store_dword v6, off, s[48:51], 0 offset:12 ; 4-byte Folded Spill
	s_waitcnt lgkmcnt(0)
	v_mad_u64_u32 v[0:1], s[0:1], s10, v4, 0
	v_mad_u64_u32 v[2:3], s[0:1], s8, v66, 0
	v_lshlrev_b32_e32 v255, 4, v66
	v_add_co_u32_e64 v202, s[6:7], s16, v255
	v_mad_u64_u32 v[4:5], s[0:1], s11, v4, v[1:2]
	v_mad_u64_u32 v[5:6], s[0:1], s9, v66, v[3:4]
	v_mov_b32_e32 v1, v4
	v_lshlrev_b64 v[0:1], 4, v[0:1]
	v_mov_b32_e32 v6, s15
	v_mov_b32_e32 v3, v5
	v_add_co_u32_e32 v4, vcc, s14, v0
	v_addc_co_u32_e32 v5, vcc, v6, v1, vcc
	v_lshlrev_b64 v[0:1], 4, v[2:3]
	s_mul_i32 s0, s9, 0x268
	s_mul_hi_u32 s1, s8, 0x268
	v_add_co_u32_e32 v0, vcc, v4, v0
	v_mov_b32_e32 v2, s17
	s_add_i32 s1, s1, s0
	s_mul_i32 s0, s8, 0x268
	v_addc_co_u32_e32 v1, vcc, v5, v1, vcc
	v_addc_co_u32_e64 v27, vcc, 0, v2, s[6:7]
	s_lshl_b64 s[14:15], s[0:1], 4
	v_mov_b32_e32 v26, s15
	v_add_co_u32_e32 v2, vcc, s14, v0
	v_addc_co_u32_e32 v3, vcc, v1, v26, vcc
	s_movk_i32 s0, 0x2000
	global_load_dwordx4 v[4:7], v[0:1], off
	global_load_dwordx4 v[8:11], v[2:3], off
	v_add_co_u32_e32 v0, vcc, s0, v202
	v_addc_co_u32_e32 v1, vcc, 0, v27, vcc
	v_add_co_u32_e32 v2, vcc, s14, v2
	v_addc_co_u32_e32 v3, vcc, v3, v26, vcc
	s_movk_i32 s0, 0x4000
	global_load_dwordx4 v[48:51], v[0:1], off offset:1664
	v_add_co_u32_e32 v0, vcc, s0, v202
	v_addc_co_u32_e32 v1, vcc, 0, v27, vcc
	global_load_dwordx4 v[12:15], v[2:3], off
	global_load_dwordx4 v[52:55], v[0:1], off offset:3328
	global_load_dwordx4 v[71:74], v255, s[16:17]
	global_load_dwordx4 v[56:59], v255, s[16:17] offset:3696
	s_mul_hi_u32 s1, s8, 0xfffffc17
	s_mul_i32 s0, s9, 0xfffffc17
	s_sub_i32 s1, s1, s8
	s_add_i32 s1, s1, s0
	s_mul_i32 s0, s8, 0xfffffc17
	s_lshl_b64 s[18:19], s[0:1], 4
	v_mov_b32_e32 v16, s19
	v_add_co_u32_e32 v2, vcc, s18, v2
	v_addc_co_u32_e32 v3, vcc, v3, v16, vcc
	v_add_co_u32_e32 v24, vcc, s14, v2
	v_addc_co_u32_e32 v25, vcc, v3, v26, vcc
	s_movk_i32 s0, 0x3000
	global_load_dwordx4 v[16:19], v[2:3], off
	global_load_dwordx4 v[20:23], v[24:25], off
	v_add_co_u32_e32 v2, vcc, s0, v202
	v_addc_co_u32_e32 v3, vcc, 0, v27, vcc
	global_load_dwordx4 v[60:63], v[2:3], off offset:1264
	v_add_co_u32_e32 v2, vcc, s14, v24
	v_addc_co_u32_e32 v3, vcc, v25, v26, vcc
	s_movk_i32 s0, 0x5000
	v_add_co_u32_e32 v28, vcc, s0, v202
	buffer_store_dword v27, off, s[48:51], 0 offset:4 ; 4-byte Folded Spill
	v_addc_co_u32_e32 v29, vcc, 0, v27, vcc
	global_load_dwordx4 v[67:70], v[28:29], off offset:2928
	global_load_dwordx4 v[24:27], v[2:3], off
	s_movk_i32 s0, 0x9a
	v_cmp_gt_u16_e64 s[0:1], s0, v66
	s_waitcnt vmcnt(10)
	v_mul_f64 v[32:33], v[10:11], v[50:51]
	v_mul_f64 v[34:35], v[8:9], v[50:51]
	s_waitcnt vmcnt(7)
	v_mul_f64 v[28:29], v[6:7], v[73:74]
	v_mul_f64 v[30:31], v[4:5], v[73:74]
	;; [unrolled: 1-line block ×3, first 2 shown]
	v_fma_f64 v[8:9], v[8:9], v[48:49], v[32:33]
	v_mul_f64 v[38:39], v[12:13], v[54:55]
	v_fma_f64 v[4:5], v[4:5], v[71:72], v[28:29]
	buffer_store_dword v71, off, s[48:51], 0 offset:96 ; 4-byte Folded Spill
	s_nop 0
	buffer_store_dword v72, off, s[48:51], 0 offset:100 ; 4-byte Folded Spill
	buffer_store_dword v73, off, s[48:51], 0 offset:104 ; 4-byte Folded Spill
	;; [unrolled: 1-line block ×4, first 2 shown]
	s_nop 0
	buffer_store_dword v49, off, s[48:51], 0 offset:20 ; 4-byte Folded Spill
	buffer_store_dword v50, off, s[48:51], 0 offset:24 ; 4-byte Folded Spill
	;; [unrolled: 1-line block ×3, first 2 shown]
	v_fma_f64 v[12:13], v[12:13], v[52:53], v[36:37]
	buffer_store_dword v52, off, s[48:51], 0 offset:32 ; 4-byte Folded Spill
	s_nop 0
	buffer_store_dword v53, off, s[48:51], 0 offset:36 ; 4-byte Folded Spill
	buffer_store_dword v54, off, s[48:51], 0 offset:40 ; 4-byte Folded Spill
	;; [unrolled: 1-line block ×3, first 2 shown]
	s_waitcnt vmcnt(17)
	v_mul_f64 v[40:41], v[18:19], v[58:59]
	v_mul_f64 v[42:43], v[16:17], v[58:59]
	s_waitcnt vmcnt(15)
	v_mul_f64 v[44:45], v[22:23], v[62:63]
	v_mul_f64 v[46:47], v[20:21], v[62:63]
	v_fma_f64 v[16:17], v[16:17], v[56:57], v[40:41]
	buffer_store_dword v56, off, s[48:51], 0 offset:48 ; 4-byte Folded Spill
	s_nop 0
	buffer_store_dword v57, off, s[48:51], 0 offset:52 ; 4-byte Folded Spill
	buffer_store_dword v58, off, s[48:51], 0 offset:56 ; 4-byte Folded Spill
	;; [unrolled: 1-line block ×3, first 2 shown]
	v_fma_f64 v[20:21], v[20:21], v[60:61], v[44:45]
	buffer_store_dword v60, off, s[48:51], 0 offset:64 ; 4-byte Folded Spill
	s_nop 0
	buffer_store_dword v61, off, s[48:51], 0 offset:68 ; 4-byte Folded Spill
	buffer_store_dword v62, off, s[48:51], 0 offset:72 ; 4-byte Folded Spill
	;; [unrolled: 1-line block ×3, first 2 shown]
	s_waitcnt vmcnt(20)
	v_mul_f64 v[28:29], v[26:27], v[69:70]
	v_fma_f64 v[6:7], v[6:7], v[71:72], -v[30:31]
	v_mul_f64 v[30:31], v[24:25], v[69:70]
	v_fma_f64 v[24:25], v[24:25], v[67:68], v[28:29]
	buffer_store_dword v67, off, s[48:51], 0 offset:80 ; 4-byte Folded Spill
	s_nop 0
	buffer_store_dword v68, off, s[48:51], 0 offset:84 ; 4-byte Folded Spill
	buffer_store_dword v69, off, s[48:51], 0 offset:88 ; 4-byte Folded Spill
	;; [unrolled: 1-line block ×3, first 2 shown]
	v_fma_f64 v[10:11], v[10:11], v[48:49], -v[34:35]
	v_fma_f64 v[14:15], v[14:15], v[52:53], -v[38:39]
	s_load_dwordx2 s[12:13], s[4:5], 0x38
	s_load_dwordx4 s[8:11], s[2:3], 0x0
	v_fma_f64 v[18:19], v[18:19], v[56:57], -v[42:43]
	v_fma_f64 v[22:23], v[22:23], v[60:61], -v[46:47]
	v_fma_f64 v[26:27], v[26:27], v[67:68], -v[30:31]
	ds_write_b128 v255, v[4:7]
	ds_write_b128 v255, v[8:11] offset:9856
	ds_write_b128 v255, v[12:15] offset:19712
	;; [unrolled: 1-line block ×5, first 2 shown]
	s_and_saveexec_b64 s[2:3], s[0:1]
	s_cbranch_execz .LBB0_3
; %bb.2:
	buffer_load_dword v21, off, s[48:51], 0 offset:4 ; 4-byte Folded Reload
	v_mov_b32_e32 v4, s19
	v_add_co_u32_e32 v10, vcc, s18, v2
	v_addc_co_u32_e32 v11, vcc, v3, v4, vcc
	v_add_co_u32_e32 v6, vcc, 0x1000, v202
	v_mov_b32_e32 v20, s15
	global_load_dwordx4 v[2:5], v[10:11], off
	s_waitcnt vmcnt(1)
	v_addc_co_u32_e32 v7, vcc, 0, v21, vcc
	v_add_co_u32_e32 v18, vcc, s14, v10
	v_addc_co_u32_e32 v19, vcc, v11, v20, vcc
	global_load_dwordx4 v[6:9], v[6:7], off offset:3296
	s_nop 0
	global_load_dwordx4 v[10:13], v[18:19], off
	global_load_dwordx4 v[14:17], v[0:1], off offset:864
	v_add_co_u32_e32 v0, vcc, s14, v18
	v_addc_co_u32_e32 v1, vcc, v19, v20, vcc
	s_movk_i32 s14, 0x6000
	v_add_co_u32_e32 v26, vcc, s14, v202
	v_addc_co_u32_e32 v27, vcc, 0, v21, vcc
	global_load_dwordx4 v[18:21], v[26:27], off offset:2528
	global_load_dwordx4 v[22:25], v[0:1], off
	s_waitcnt vmcnt(4)
	v_mul_f64 v[0:1], v[4:5], v[8:9]
	v_mul_f64 v[8:9], v[2:3], v[8:9]
	s_waitcnt vmcnt(2)
	v_mul_f64 v[26:27], v[12:13], v[16:17]
	v_mul_f64 v[16:17], v[10:11], v[16:17]
	v_fma_f64 v[0:1], v[2:3], v[6:7], v[0:1]
	v_fma_f64 v[2:3], v[4:5], v[6:7], -v[8:9]
	v_fma_f64 v[4:5], v[10:11], v[14:15], v[26:27]
	s_waitcnt vmcnt(0)
	v_mul_f64 v[28:29], v[24:25], v[20:21]
	v_mul_f64 v[20:21], v[22:23], v[20:21]
	v_fma_f64 v[6:7], v[12:13], v[14:15], -v[16:17]
	v_fma_f64 v[8:9], v[22:23], v[18:19], v[28:29]
	v_fma_f64 v[10:11], v[24:25], v[18:19], -v[20:21]
	ds_write_b128 v255, v[0:3] offset:7392
	ds_write_b128 v255, v[4:7] offset:17248
	;; [unrolled: 1-line block ×3, first 2 shown]
.LBB0_3:
	s_or_b64 exec, exec, s[2:3]
	s_waitcnt vmcnt(0) lgkmcnt(0)
	s_barrier
	ds_read_b128 v[24:27], v255
	ds_read_b128 v[40:43], v255 offset:3696
	ds_read_b128 v[62:65], v255 offset:9856
	;; [unrolled: 1-line block ×5, first 2 shown]
                                        ; implicit-def: $vgpr54_vgpr55
                                        ; implicit-def: $vgpr58_vgpr59
                                        ; implicit-def: $vgpr50_vgpr51
	s_and_saveexec_b64 s[2:3], s[0:1]
	s_cbranch_execz .LBB0_5
; %bb.4:
	ds_read_b128 v[50:53], v255 offset:7392
	ds_read_b128 v[54:57], v255 offset:17248
	;; [unrolled: 1-line block ×3, first 2 shown]
.LBB0_5:
	s_or_b64 exec, exec, s[2:3]
	s_waitcnt lgkmcnt(1)
	v_add_f64 v[0:1], v[62:63], v[36:37]
	v_add_f64 v[2:3], v[24:25], v[62:63]
	v_add_f64 v[4:5], v[64:65], -v[38:39]
	v_add_f64 v[6:7], v[64:65], v[38:39]
	s_waitcnt lgkmcnt(0)
	v_add_f64 v[8:9], v[46:47], v[28:29]
	s_load_dwordx2 s[14:15], s[4:5], 0x8
	s_movk_i32 s4, 0xe7
	s_movk_i32 s5, 0x1ce
	v_fma_f64 v[0:1], v[0:1], -0.5, v[24:25]
	v_add_f64 v[24:25], v[2:3], v[36:37]
	v_add_f64 v[2:3], v[26:27], v[64:65]
	s_mov_b32 s2, 0xe8584caa
	s_mov_b32 s3, 0x3febb67a
	v_add_co_u32_e32 v225, vcc, s4, v66
	v_add_co_u32_e32 v18, vcc, s5, v66
	s_mov_b32 s5, 0xbfebb67a
	s_mov_b32 s4, s2
	v_fma_f64 v[32:33], v[4:5], s[2:3], v[0:1]
	v_fma_f64 v[6:7], v[6:7], -0.5, v[26:27]
	v_add_f64 v[10:11], v[62:63], -v[36:37]
	v_add_f64 v[12:13], v[40:41], v[46:47]
	v_fma_f64 v[8:9], v[8:9], -0.5, v[40:41]
	v_add_f64 v[14:15], v[48:49], -v[30:31]
	v_fma_f64 v[36:37], v[4:5], s[4:5], v[0:1]
	v_add_f64 v[26:27], v[2:3], v[38:39]
	v_add_f64 v[0:1], v[48:49], v[30:31]
	;; [unrolled: 1-line block ×4, first 2 shown]
	v_fma_f64 v[34:35], v[10:11], s[4:5], v[6:7]
	v_fma_f64 v[38:39], v[10:11], s[2:3], v[6:7]
	v_add_f64 v[40:41], v[12:13], v[28:29]
	v_fma_f64 v[44:45], v[14:15], s[2:3], v[8:9]
	v_fma_f64 v[88:89], v[14:15], s[4:5], v[8:9]
	v_add_f64 v[6:7], v[42:43], v[48:49]
	v_fma_f64 v[0:1], v[0:1], -0.5, v[42:43]
	v_add_f64 v[8:9], v[46:47], -v[28:29]
	v_add_f64 v[10:11], v[54:55], v[50:51]
	v_fma_f64 v[2:3], v[2:3], -0.5, v[50:51]
	v_add_f64 v[12:13], v[56:57], -v[60:61]
	;; [unrolled: 3-line block ×3, first 2 shown]
	v_add_f64 v[42:43], v[6:7], v[30:31]
	v_fma_f64 v[46:47], v[8:9], s[4:5], v[0:1]
	v_fma_f64 v[90:91], v[8:9], s[2:3], v[0:1]
	v_add_f64 v[92:93], v[58:59], v[10:11]
	v_fma_f64 v[28:29], v[12:13], s[2:3], v[2:3]
	v_fma_f64 v[96:97], v[12:13], s[4:5], v[2:3]
	;; [unrolled: 3-line block ×3, first 2 shown]
	v_mul_u32_u24_e32 v224, 3, v66
	v_mul_u32_u24_e32 v0, 3, v225
	v_lshlrev_b32_e32 v254, 4, v224
	v_lshlrev_b32_e32 v221, 4, v0
	v_mul_u32_u24_e32 v223, 3, v18
	s_waitcnt lgkmcnt(0)
	s_barrier
	ds_write_b128 v254, v[24:27]
	ds_write_b128 v254, v[32:35] offset:16
	ds_write_b128 v254, v[36:39] offset:32
	ds_write_b128 v221, v[40:43]
	ds_write_b128 v221, v[44:47] offset:16
	ds_write_b128 v221, v[88:91] offset:32
	s_and_saveexec_b64 s[2:3], s[0:1]
	s_cbranch_execz .LBB0_7
; %bb.6:
	v_lshlrev_b32_e32 v0, 4, v223
	ds_write_b128 v0, v[92:95]
	ds_write_b128 v0, v[28:31] offset:16
	ds_write_b128 v0, v[96:99] offset:32
.LBB0_7:
	s_or_b64 exec, exec, s[2:3]
	s_movk_i32 s2, 0xa8
	v_cmp_gt_u16_e64 s[2:3], s2, v66
	s_waitcnt lgkmcnt(0)
	s_barrier
	s_waitcnt lgkmcnt(0)
                                        ; implicit-def: $vgpr100_vgpr101
                                        ; implicit-def: $vgpr104_vgpr105
	s_and_saveexec_b64 s[4:5], s[2:3]
	s_cbranch_execz .LBB0_9
; %bb.8:
	ds_read_b128 v[24:27], v255
	ds_read_b128 v[32:35], v255 offset:2688
	ds_read_b128 v[36:39], v255 offset:5376
	;; [unrolled: 1-line block ×10, first 2 shown]
.LBB0_9:
	s_or_b64 exec, exec, s[4:5]
	s_movk_i32 s4, 0xab
	v_mul_lo_u16_sdwa v0, v66, s4 dst_sel:DWORD dst_unused:UNUSED_PAD src0_sel:BYTE_0 src1_sel:DWORD
	v_lshrrev_b16_e32 v226, 9, v0
	v_mul_lo_u16_e32 v0, 3, v226
	v_sub_u16_e32 v0, v66, v0
	v_and_b32_e32 v0, 0xff, v0
	buffer_store_dword v0, off, s[48:51], 0 offset:112 ; 4-byte Folded Spill
	v_mul_u32_u24_e32 v0, 10, v0
	buffer_store_dword v66, off, s[48:51], 0 ; 4-byte Folded Spill
	v_lshlrev_b32_e32 v0, 4, v0
	global_load_dwordx4 v[64:67], v0, s[14:15]
	global_load_dwordx4 v[60:63], v0, s[14:15] offset:16
	global_load_dwordx4 v[56:59], v0, s[14:15] offset:32
	;; [unrolled: 1-line block ×9, first 2 shown]
	s_mov_b32 s22, 0xf8bb580b
	s_mov_b32 s23, 0xbfe14ced
	;; [unrolled: 1-line block ×28, first 2 shown]
	s_waitcnt vmcnt(0) lgkmcnt(0)
	s_barrier
	v_mul_f64 v[0:1], v[34:35], v[66:67]
	v_mul_f64 v[2:3], v[32:33], v[66:67]
	;; [unrolled: 1-line block ×9, first 2 shown]
	v_fma_f64 v[128:129], v[32:33], v[64:65], -v[0:1]
	v_fma_f64 v[130:131], v[34:35], v[64:65], v[2:3]
	v_mul_f64 v[2:3], v[100:101], v[86:87]
	v_mul_f64 v[16:17], v[90:91], v[78:79]
	;; [unrolled: 1-line block ×4, first 2 shown]
	v_fma_f64 v[33:34], v[106:107], v[48:49], v[112:113]
	v_mul_f64 v[0:1], v[102:103], v[86:87]
	v_fma_f64 v[116:117], v[36:37], v[60:61], -v[4:5]
	v_fma_f64 v[122:123], v[38:39], v[60:61], v[6:7]
	v_fma_f64 v[132:133], v[104:105], v[48:49], -v[124:125]
	v_fma_f64 v[35:36], v[102:103], v[84:85], v[2:3]
	v_mul_f64 v[12:13], v[46:47], v[54:55]
	v_mul_f64 v[120:121], v[98:99], v[82:83]
	v_add_f64 v[150:151], v[130:131], -v[33:34]
	v_fma_f64 v[112:113], v[40:41], v[56:57], -v[8:9]
	v_fma_f64 v[114:115], v[42:43], v[56:57], v[10:11]
	v_fma_f64 v[102:103], v[46:47], v[52:53], v[14:15]
	v_fma_f64 v[46:47], v[88:89], v[76:77], -v[16:17]
	v_fma_f64 v[88:89], v[90:91], v[76:77], v[18:19]
	v_fma_f64 v[37:38], v[100:101], v[84:85], -v[0:1]
	v_add_f64 v[134:135], v[128:129], v[132:133]
	v_add_f64 v[144:145], v[128:129], -v[132:133]
	v_add_f64 v[148:149], v[122:123], -v[35:36]
	v_mul_f64 v[90:91], v[150:151], s[22:23]
	v_fma_f64 v[39:40], v[98:99], v[80:81], v[118:119]
	v_mul_f64 v[110:111], v[28:29], v[70:71]
	v_add_f64 v[162:163], v[130:131], v[33:34]
	v_add_f64 v[136:137], v[116:117], v[37:38]
	v_add_f64 v[146:147], v[116:117], -v[37:38]
	v_mul_f64 v[118:119], v[144:145], s[22:23]
	v_mul_f64 v[100:101], v[148:149], s[20:21]
	v_fma_f64 v[0:1], v[134:135], s[18:19], v[90:91]
	v_fma_f64 v[42:43], v[96:97], v[80:81], -v[120:121]
	v_add_f64 v[152:153], v[114:115], -v[39:40]
	v_mul_f64 v[108:109], v[30:31], v[70:71]
	v_add_f64 v[160:161], v[122:123], v[35:36]
	v_mul_f64 v[120:121], v[146:147], s[20:21]
	v_fma_f64 v[2:3], v[162:163], s[18:19], -v[118:119]
	v_fma_f64 v[4:5], v[136:137], s[4:5], v[100:101]
	v_add_f64 v[0:1], v[24:25], v[0:1]
	v_fma_f64 v[30:31], v[30:31], v[68:69], v[110:111]
	v_add_f64 v[158:159], v[112:113], v[42:43]
	v_mul_f64 v[138:139], v[152:153], s[24:25]
	v_add_f64 v[182:183], v[112:113], -v[42:43]
	v_mul_f64 v[22:23], v[92:93], v[74:75]
	v_fma_f64 v[104:105], v[44:45], v[52:53], -v[12:13]
	v_fma_f64 v[28:29], v[28:29], v[68:69], -v[108:109]
	;; [unrolled: 1-line block ×3, first 2 shown]
	v_add_f64 v[2:3], v[26:27], v[2:3]
	v_add_f64 v[0:1], v[4:5], v[0:1]
	v_fma_f64 v[4:5], v[158:159], s[26:27], v[138:139]
	v_add_f64 v[203:204], v[114:115], v[39:40]
	v_mul_f64 v[140:141], v[182:183], s[24:25]
	v_add_f64 v[176:177], v[102:103], -v[30:31]
	v_mul_f64 v[20:21], v[94:95], v[74:75]
	v_fma_f64 v[106:107], v[94:95], v[72:73], v[22:23]
	v_add_f64 v[2:3], v[6:7], v[2:3]
	v_add_f64 v[174:175], v[104:105], v[28:29]
	;; [unrolled: 1-line block ×3, first 2 shown]
	v_add_f64 v[178:179], v[104:105], -v[28:29]
	v_fma_f64 v[4:5], v[203:204], s[26:27], -v[140:141]
	v_mul_f64 v[142:143], v[176:177], s[30:31]
	v_fma_f64 v[44:45], v[92:93], v[72:73], -v[20:21]
	v_add_f64 v[190:191], v[102:103], v[30:31]
	v_add_f64 v[194:195], v[88:89], -v[106:107]
	v_add_f64 v[196:197], v[88:89], v[106:107]
	v_mul_f64 v[164:165], v[150:151], s[20:21]
	v_mul_f64 v[154:155], v[178:179], s[30:31]
	v_add_f64 v[2:3], v[4:5], v[2:3]
	v_fma_f64 v[4:5], v[174:175], s[28:29], v[142:143]
	v_add_f64 v[184:185], v[46:47], v[44:45]
	v_add_f64 v[192:193], v[46:47], -v[44:45]
	v_mul_f64 v[156:157], v[194:195], s[38:39]
	v_mul_f64 v[166:167], v[148:149], s[30:31]
	;; [unrolled: 1-line block ×5, first 2 shown]
	v_add_f64 v[0:1], v[4:5], v[0:1]
	v_fma_f64 v[4:5], v[190:191], s[28:29], -v[154:155]
	v_mul_f64 v[229:230], v[192:193], s[38:39]
	v_mul_f64 v[170:171], v[182:183], s[42:43]
	;; [unrolled: 1-line block ×7, first 2 shown]
	v_add_f64 v[2:3], v[4:5], v[2:3]
	v_fma_f64 v[4:5], v[184:185], s[34:35], v[156:157]
	v_mul_f64 v[205:206], v[148:149], s[42:43]
	v_mul_f64 v[8:9], v[144:145], s[24:25]
	;; [unrolled: 1-line block ×7, first 2 shown]
	v_add_f64 v[92:93], v[4:5], v[0:1]
	v_fma_f64 v[0:1], v[196:197], s[34:35], -v[229:230]
	v_fma_f64 v[4:5], v[160:161], s[28:29], -v[172:173]
	v_mul_f64 v[219:220], v[182:183], s[22:23]
	v_mul_u32_u24_e32 v32, 33, v226
	buffer_store_dword v32, off, s[48:51], 0 offset:116 ; 4-byte Folded Spill
	v_fma_f64 v[20:21], v[160:161], s[26:27], -v[213:214]
	v_add_f64 v[94:95], v[0:1], v[2:3]
	v_fma_f64 v[0:1], v[134:135], s[4:5], v[164:165]
	v_fma_f64 v[2:3], v[136:137], s[28:29], v[166:167]
	v_add_f64 v[0:1], v[24:25], v[0:1]
	v_add_f64 v[0:1], v[2:3], v[0:1]
	v_fma_f64 v[2:3], v[162:163], s[4:5], -v[180:181]
	v_add_f64 v[2:3], v[26:27], v[2:3]
	v_add_f64 v[2:3], v[4:5], v[2:3]
	v_fma_f64 v[4:5], v[158:159], s[34:35], v[168:169]
	v_add_f64 v[0:1], v[4:5], v[0:1]
	v_fma_f64 v[4:5], v[203:204], s[34:35], -v[170:171]
	v_add_f64 v[2:3], v[4:5], v[2:3]
	v_fma_f64 v[4:5], v[174:175], s[26:27], v[186:187]
	v_add_f64 v[0:1], v[4:5], v[0:1]
	v_fma_f64 v[4:5], v[190:191], s[26:27], -v[198:199]
	;; [unrolled: 4-line block ×3, first 2 shown]
	v_fma_f64 v[4:5], v[160:161], s[34:35], -v[10:11]
	v_add_f64 v[110:111], v[0:1], v[2:3]
	v_fma_f64 v[0:1], v[134:135], s[26:27], v[207:208]
	v_fma_f64 v[2:3], v[136:137], s[34:35], v[205:206]
	v_add_f64 v[0:1], v[24:25], v[0:1]
	v_add_f64 v[0:1], v[2:3], v[0:1]
	v_fma_f64 v[2:3], v[162:163], s[26:27], -v[8:9]
	v_add_f64 v[2:3], v[26:27], v[2:3]
	v_add_f64 v[4:5], v[4:5], v[2:3]
	v_mul_f64 v[2:3], v[152:153], s[44:45]
	v_fma_f64 v[6:7], v[158:159], s[4:5], v[2:3]
	v_add_f64 v[6:7], v[6:7], v[0:1]
	v_fma_f64 v[0:1], v[203:204], s[4:5], -v[211:212]
	v_add_f64 v[4:5], v[0:1], v[4:5]
	v_mul_f64 v[0:1], v[176:177], s[22:23]
	v_fma_f64 v[12:13], v[174:175], s[18:19], v[0:1]
	v_add_f64 v[12:13], v[12:13], v[6:7]
	v_mul_f64 v[6:7], v[178:179], s[22:23]
	v_fma_f64 v[14:15], v[190:191], s[18:19], -v[6:7]
	v_add_f64 v[14:15], v[14:15], v[4:5]
	v_fma_f64 v[4:5], v[184:185], s[28:29], v[209:210]
	v_add_f64 v[124:125], v[4:5], v[12:13]
	v_mul_f64 v[4:5], v[192:193], s[30:31]
	v_fma_f64 v[12:13], v[196:197], s[28:29], -v[4:5]
	v_add_f64 v[126:127], v[12:13], v[14:15]
	v_mul_f64 v[14:15], v[150:151], s[30:31]
	v_fma_f64 v[12:13], v[134:135], s[28:29], v[14:15]
	v_add_f64 v[16:17], v[24:25], v[12:13]
	v_mul_f64 v[12:13], v[148:149], s[36:37]
	v_fma_f64 v[18:19], v[136:137], s[26:27], v[12:13]
	v_add_f64 v[16:17], v[18:19], v[16:17]
	v_fma_f64 v[18:19], v[162:163], s[28:29], -v[217:218]
	v_add_f64 v[18:19], v[26:27], v[18:19]
	v_add_f64 v[20:21], v[20:21], v[18:19]
	v_mul_f64 v[18:19], v[152:153], s[22:23]
	v_fma_f64 v[22:23], v[158:159], s[18:19], v[18:19]
	v_add_f64 v[22:23], v[22:23], v[16:17]
	v_fma_f64 v[16:17], v[203:204], s[18:19], -v[219:220]
	v_add_f64 v[20:21], v[16:17], v[20:21]
	v_mul_f64 v[16:17], v[176:177], s[38:39]
	v_fma_f64 v[96:97], v[174:175], s[34:35], v[16:17]
	v_add_f64 v[96:97], v[96:97], v[22:23]
	v_mul_f64 v[22:23], v[178:179], s[38:39]
	v_fma_f64 v[98:99], v[190:191], s[34:35], -v[22:23]
	v_add_f64 v[98:99], v[98:99], v[20:21]
	v_mul_f64 v[20:21], v[194:195], s[44:45]
	v_fma_f64 v[215:216], v[184:185], s[4:5], v[20:21]
	v_add_f64 v[96:97], v[215:216], v[96:97]
	v_mul_f64 v[215:216], v[192:193], s[44:45]
	v_fma_f64 v[227:228], v[196:197], s[4:5], -v[215:216]
	v_add_f64 v[98:99], v[227:228], v[98:99]
	s_and_saveexec_b64 s[40:41], s[2:3]
	s_cbranch_execz .LBB0_11
; %bb.10:
	v_mul_f64 v[226:227], v[134:135], s[18:19]
	v_mul_f64 v[232:233], v[162:163], s[4:5]
	;; [unrolled: 1-line block ×8, first 2 shown]
	buffer_store_dword v226, off, s[48:51], 0 offset:124 ; 4-byte Folded Spill
	s_nop 0
	buffer_store_dword v227, off, s[48:51], 0 offset:128 ; 4-byte Folded Spill
	v_mul_f64 v[226:227], v[162:163], s[18:19]
	v_mul_f64 v[162:163], v[162:163], s[34:35]
	v_mul_f64 v[148:149], v[148:149], s[46:47]
	v_mul_f64 v[152:153], v[152:153], s[30:31]
	v_mul_f64 v[176:177], v[176:177], s[44:45]
	v_mul_f64 v[234:235], v[190:191], s[4:5]
	v_add_f64 v[217:218], v[217:218], v[240:241]
	v_mul_f64 v[238:239], v[134:135], s[28:29]
	buffer_store_dword v226, off, s[48:51], 0 offset:148 ; 4-byte Folded Spill
	s_nop 0
	buffer_store_dword v227, off, s[48:51], 0 offset:152 ; 4-byte Folded Spill
	v_mul_f64 v[226:227], v[134:135], s[4:5]
	v_mul_f64 v[250:251], v[136:137], s[34:35]
	;; [unrolled: 1-line block ×4, first 2 shown]
	v_add_f64 v[10:11], v[10:11], v[252:253]
	v_add_f64 v[217:218], v[26:27], v[217:218]
	v_add_f64 v[238:239], v[238:239], -v[14:15]
	v_add_f64 v[130:131], v[26:27], v[130:131]
	buffer_store_dword v226, off, s[48:51], 0 offset:132 ; 4-byte Folded Spill
	s_nop 0
	buffer_store_dword v227, off, s[48:51], 0 offset:136 ; 4-byte Folded Spill
	v_mul_f64 v[226:227], v[134:135], s[26:27]
	v_add_f64 v[128:129], v[24:25], v[128:129]
	v_add_f64 v[16:17], v[240:241], -v[16:17]
	v_mul_f64 v[194:195], v[194:195], s[24:25]
	buffer_store_dword v226, off, s[48:51], 0 offset:188 ; 4-byte Folded Spill
	s_nop 0
	buffer_store_dword v227, off, s[48:51], 0 offset:192 ; 4-byte Folded Spill
	v_mul_f64 v[226:227], v[136:137], s[4:5]
	v_add_f64 v[122:123], v[130:131], v[122:123]
	v_add_f64 v[116:117], v[128:129], v[116:117]
	v_add_f64 v[128:129], v[250:251], -v[205:206]
	buffer_store_dword v226, off, s[48:51], 0 offset:140 ; 4-byte Folded Spill
	s_nop 0
	buffer_store_dword v227, off, s[48:51], 0 offset:144 ; 4-byte Folded Spill
	v_mul_f64 v[226:227], v[160:161], s[4:5]
	v_add_f64 v[112:113], v[116:117], v[112:113]
	buffer_store_dword v226, off, s[48:51], 0 offset:156 ; 4-byte Folded Spill
	s_nop 0
	buffer_store_dword v227, off, s[48:51], 0 offset:160 ; 4-byte Folded Spill
	v_mul_f64 v[226:227], v[136:137], s[28:29]
	buffer_store_dword v226, off, s[48:51], 0 offset:164 ; 4-byte Folded Spill
	s_nop 0
	buffer_store_dword v227, off, s[48:51], 0 offset:168 ; 4-byte Folded Spill
	buffer_store_dword v33, off, s[48:51], 0 offset:172 ; 4-byte Folded Spill
	s_nop 0
	buffer_store_dword v34, off, s[48:51], 0 offset:176 ; 4-byte Folded Spill
	buffer_store_dword v35, off, s[48:51], 0 offset:180 ; 4-byte Folded Spill
	s_nop 0
	buffer_store_dword v36, off, s[48:51], 0 offset:184 ; 4-byte Folded Spill
	v_mul_f64 v[32:33], v[158:159], s[26:27]
	buffer_store_dword v221, off, s[48:51], 0 offset:120 ; 4-byte Folded Spill
	v_mul_f64 v[34:35], v[136:137], s[26:27]
	v_mul_f64 v[221:222], v[160:161], s[26:27]
	;; [unrolled: 1-line block ×3, first 2 shown]
	v_mov_b32_e32 v227, v119
	v_mov_b32_e32 v226, v118
	buffer_store_dword v32, off, s[48:51], 0 offset:196 ; 4-byte Folded Spill
	s_nop 0
	buffer_store_dword v33, off, s[48:51], 0 offset:200 ; 4-byte Folded Spill
	v_mul_f64 v[32:33], v[203:204], s[26:27]
	buffer_store_dword v120, off, s[48:51], 0 offset:252 ; 4-byte Folded Spill
	s_nop 0
	buffer_store_dword v121, off, s[48:51], 0 offset:256 ; 4-byte Folded Spill
	buffer_store_dword v100, off, s[48:51], 0 offset:244 ; 4-byte Folded Spill
	s_nop 0
	buffer_store_dword v101, off, s[48:51], 0 offset:248 ; 4-byte Folded Spill
	v_add_f64 v[12:13], v[34:35], -v[12:13]
	v_fma_f64 v[100:101], v[144:145], s[42:43], v[162:163]
	v_mov_b32_e32 v121, v40
	v_mov_b32_e32 v120, v39
	v_fma_f64 v[244:245], v[146:147], s[22:23], v[160:161]
	buffer_store_dword v32, off, s[48:51], 0 offset:220 ; 4-byte Folded Spill
	s_nop 0
	buffer_store_dword v33, off, s[48:51], 0 offset:224 ; 4-byte Folded Spill
	v_mul_f64 v[32:33], v[158:159], s[34:35]
	v_mov_b32_e32 v40, v154
	v_add_f64 v[100:101], v[26:27], v[100:101]
	s_mov_b32 s23, 0x3fe82f19
	s_mov_b32 s22, s30
	v_mov_b32_e32 v41, v155
	v_mov_b32_e32 v155, v141
	buffer_store_dword v32, off, s[48:51], 0 offset:228 ; 4-byte Folded Spill
	s_nop 0
	buffer_store_dword v33, off, s[48:51], 0 offset:232 ; 4-byte Folded Spill
	buffer_store_dword v132, off, s[48:51], 0 offset:204 ; 4-byte Folded Spill
	s_nop 0
	buffer_store_dword v133, off, s[48:51], 0 offset:208 ; 4-byte Folded Spill
	;; [unrolled: 3-line block ×3, first 2 shown]
	buffer_load_dword v34, off, s[48:51], 0 offset:188 ; 4-byte Folded Reload
	buffer_load_dword v35, off, s[48:51], 0 offset:192 ; 4-byte Folded Reload
	v_mov_b32_e32 v229, v38
	v_mov_b32_e32 v228, v37
	;; [unrolled: 1-line block ×4, first 2 shown]
	v_fma_f64 v[138:139], v[134:135], s[34:35], v[150:151]
	v_mov_b32_e32 v154, v140
	v_fma_f64 v[140:141], v[182:183], s[22:23], v[242:243]
	v_add_f64 v[100:101], v[244:245], v[100:101]
	v_fma_f64 v[244:245], v[136:137], s[18:19], v[148:149]
	v_mov_b32_e32 v36, v90
	v_mul_f64 v[230:231], v[158:159], s[4:5]
	v_mov_b32_e32 v37, v91
	v_add_f64 v[138:139], v[24:25], v[138:139]
	v_mul_f64 v[90:91], v[158:159], s[18:19]
	v_mul_f64 v[132:133], v[203:204], s[34:35]
	v_add_f64 v[100:101], v[140:141], v[100:101]
	v_fma_f64 v[140:141], v[144:145], s[38:39], v[162:163]
	v_fma_f64 v[144:145], v[158:159], s[28:29], v[152:153]
	v_fma_f64 v[152:153], v[158:159], s[28:29], -v[152:153]
	v_fma_f64 v[158:159], v[174:175], s[4:5], v[176:177]
	v_add_f64 v[138:139], v[244:245], v[138:139]
	v_add_f64 v[18:19], v[90:91], -v[18:19]
	v_mul_f64 v[203:204], v[203:204], s[18:19]
	v_fma_f64 v[32:33], v[178:179], s[20:21], v[234:235]
	v_fma_f64 v[146:147], v[146:147], s[46:47], v[160:161]
	v_add_f64 v[140:141], v[26:27], v[140:141]
	v_fma_f64 v[136:137], v[136:137], s[18:19], -v[148:149]
	v_mul_f64 v[148:149], v[196:197], s[26:27]
	v_add_f64 v[138:139], v[144:145], v[138:139]
	v_add_f64 v[213:214], v[213:214], v[221:222]
	v_fma_f64 v[134:135], v[134:135], s[34:35], -v[150:151]
	v_mul_f64 v[162:163], v[190:191], s[28:29]
	v_mul_f64 v[160:161], v[190:191], s[26:27]
	v_add_f64 v[32:33], v[32:33], v[100:101]
	v_mul_f64 v[144:145], v[190:191], s[18:19]
	v_mul_f64 v[190:191], v[190:191], s[34:35]
	v_add_f64 v[90:91], v[158:159], v[138:139]
	v_fma_f64 v[182:183], v[182:183], s[30:31], v[242:243]
	v_add_f64 v[140:141], v[146:147], v[140:141]
	v_add_f64 v[203:204], v[219:220], v[203:204]
	v_fma_f64 v[14:15], v[192:193], s[36:37], v[148:149]
	v_add_f64 v[213:214], v[213:214], v[217:218]
	v_add_f64 v[134:135], v[24:25], v[134:135]
	v_mul_f64 v[146:147], v[196:197], s[34:35]
	v_mul_f64 v[150:151], v[196:197], s[18:19]
	;; [unrolled: 1-line block ×4, first 2 shown]
	v_add_f64 v[22:23], v[22:23], v[190:191]
	v_add_f64 v[14:15], v[14:15], v[32:33]
	;; [unrolled: 1-line block ×6, first 2 shown]
	v_fma_f64 v[178:179], v[178:179], s[44:45], v[234:235]
	v_mul_f64 v[234:235], v[184:185], s[4:5]
	v_add_f64 v[6:7], v[6:7], v[144:145]
	v_mul_f64 v[100:101], v[174:175], s[18:19]
	v_mul_f64 v[221:222], v[184:185], s[18:19]
	v_add_f64 v[134:135], v[152:153], v[134:135]
	v_add_f64 v[152:153], v[215:216], v[196:197]
	v_add_f64 v[12:13], v[12:13], v[136:137]
	v_add_f64 v[22:23], v[22:23], v[182:183]
	v_add_f64 v[136:137], v[8:9], v[236:237]
	v_add_f64 v[2:3], v[230:231], -v[2:3]
	v_add_f64 v[4:5], v[4:5], v[217:218]
	v_add_f64 v[0:1], v[100:101], -v[0:1]
	v_mul_f64 v[244:245], v[174:175], s[26:27]
	v_mov_b32_e32 v118, v156
	v_add_f64 v[12:13], v[18:19], v[12:13]
	v_add_f64 v[18:19], v[152:153], v[22:23]
	;; [unrolled: 1-line block ×3, first 2 shown]
	v_add_f64 v[136:137], v[234:235], -v[20:21]
	v_add_f64 v[20:21], v[180:181], v[232:233]
	v_mov_b32_e32 v119, v157
	v_mul_f64 v[156:157], v[174:175], s[28:29]
	v_mul_f64 v[242:243], v[184:185], s[34:35]
	v_add_f64 v[12:13], v[16:17], v[12:13]
	v_add_f64 v[16:17], v[211:212], v[246:247]
	;; [unrolled: 1-line block ×3, first 2 shown]
	s_waitcnt vmcnt(0)
	v_add_f64 v[138:139], v[34:35], -v[207:208]
	buffer_load_dword v34, off, s[48:51], 0 offset:148 ; 4-byte Folded Reload
	buffer_load_dword v35, off, s[48:51], 0 offset:152 ; 4-byte Folded Reload
	v_add_f64 v[22:23], v[172:173], v[248:249]
	v_add_f64 v[20:21], v[26:27], v[20:21]
	v_mul_f64 v[219:220], v[184:185], s[28:29]
	v_fma_f64 v[148:149], v[192:193], s[24:25], v[148:149]
	v_add_f64 v[32:33], v[178:179], v[32:33]
	v_add_f64 v[10:11], v[16:17], v[10:11]
	;; [unrolled: 1-line block ×4, first 2 shown]
	v_fma_f64 v[174:175], v[174:175], s[4:5], -v[176:177]
	v_add_f64 v[20:21], v[22:23], v[20:21]
	v_add_f64 v[22:23], v[122:123], v[114:115]
	v_add_f64 v[100:101], v[200:201], v[150:151]
	v_add_f64 v[8:9], v[148:149], v[32:33]
	v_add_f64 v[6:7], v[6:7], v[10:11]
	v_add_f64 v[10:11], v[198:199], v[160:161]
	v_add_f64 v[114:115], v[128:129], v[130:131]
	v_fma_f64 v[32:33], v[184:185], s[26:27], -v[194:195]
	v_add_f64 v[16:17], v[16:17], v[20:21]
	v_add_f64 v[20:21], v[22:23], v[102:103]
	;; [unrolled: 1-line block ×3, first 2 shown]
	v_add_f64 v[102:103], v[219:220], -v[209:210]
	v_add_f64 v[134:135], v[174:175], v[134:135]
	v_fma_f64 v[140:141], v[184:185], s[26:27], v[194:195]
	v_add_f64 v[2:3], v[2:3], v[114:115]
	v_add_f64 v[10:11], v[10:11], v[16:17]
	;; [unrolled: 1-line block ×4, first 2 shown]
	buffer_load_dword v22, off, s[48:51], 0 offset:124 ; 4-byte Folded Reload
	buffer_load_dword v23, off, s[48:51], 0 offset:128 ; 4-byte Folded Reload
	v_add_f64 v[0:1], v[0:1], v[2:3]
	v_add_f64 v[2:3], v[4:5], v[6:7]
	;; [unrolled: 1-line block ×8, first 2 shown]
	v_add_f64 v[40:41], v[221:222], -v[188:189]
	v_add_f64 v[20:21], v[20:21], v[28:29]
	v_add_f64 v[28:29], v[244:245], -v[186:187]
	v_add_f64 v[16:17], v[16:17], v[120:121]
	v_add_f64 v[20:21], v[20:21], v[42:43]
	;; [unrolled: 1-line block ×3, first 2 shown]
	s_waitcnt vmcnt(2)
	v_add_f64 v[104:105], v[226:227], v[34:35]
	buffer_load_dword v34, off, s[48:51], 0 offset:132 ; 4-byte Folded Reload
	buffer_load_dword v35, off, s[48:51], 0 offset:136 ; 4-byte Folded Reload
	v_add_f64 v[26:27], v[26:27], v[104:105]
	s_waitcnt vmcnt(2)
	v_add_f64 v[22:23], v[22:23], -v[36:37]
	v_add_f64 v[22:23], v[24:25], v[22:23]
	s_waitcnt vmcnt(0)
	v_add_f64 v[46:47], v[34:35], -v[164:165]
	buffer_load_dword v34, off, s[48:51], 0 offset:164 ; 4-byte Folded Reload
	buffer_load_dword v35, off, s[48:51], 0 offset:168 ; 4-byte Folded Reload
	v_add_f64 v[24:25], v[24:25], v[46:47]
	s_waitcnt vmcnt(0)
	v_add_f64 v[88:89], v[34:35], -v[166:167]
	buffer_load_dword v34, off, s[48:51], 0 offset:156 ; 4-byte Folded Reload
	buffer_load_dword v35, off, s[48:51], 0 offset:160 ; 4-byte Folded Reload
	;; [unrolled: 1-line block ×4, first 2 shown]
	v_add_f64 v[24:25], v[88:89], v[24:25]
	s_waitcnt vmcnt(0)
	v_add_f64 v[112:113], v[36:37], v[34:35]
	buffer_load_dword v34, off, s[48:51], 0 offset:140 ; 4-byte Folded Reload
	buffer_load_dword v35, off, s[48:51], 0 offset:144 ; 4-byte Folded Reload
	;; [unrolled: 1-line block ×4, first 2 shown]
	v_add_f64 v[26:27], v[112:113], v[26:27]
	s_waitcnt vmcnt(0)
	v_add_f64 v[104:105], v[34:35], -v[36:37]
	buffer_load_dword v34, off, s[48:51], 0 offset:228 ; 4-byte Folded Reload
	buffer_load_dword v35, off, s[48:51], 0 offset:232 ; 4-byte Folded Reload
	v_add_f64 v[22:23], v[104:105], v[22:23]
	s_waitcnt vmcnt(0)
	v_add_f64 v[44:45], v[34:35], -v[168:169]
	buffer_load_dword v34, off, s[48:51], 0 offset:220 ; 4-byte Folded Reload
	buffer_load_dword v35, off, s[48:51], 0 offset:224 ; 4-byte Folded Reload
	v_add_f64 v[24:25], v[44:45], v[24:25]
	v_add_f64 v[44:45], v[242:243], -v[118:119]
	s_waitcnt vmcnt(0)
	v_add_f64 v[46:47], v[154:155], v[34:35]
	buffer_load_dword v34, off, s[48:51], 0 offset:196 ; 4-byte Folded Reload
	buffer_load_dword v35, off, s[48:51], 0 offset:200 ; 4-byte Folded Reload
	v_add_f64 v[26:27], v[46:47], v[26:27]
	v_add_f64 v[46:47], v[156:157], -v[142:143]
	v_add_f64 v[26:27], v[30:31], v[26:27]
	s_waitcnt vmcnt(0)
	v_add_f64 v[106:107], v[34:35], -v[38:39]
	buffer_load_dword v221, off, s[48:51], 0 offset:120 ; 4-byte Folded Reload
	buffer_load_dword v34, off, s[48:51], 0 offset:236 ; 4-byte Folded Reload
	;; [unrolled: 1-line block ×7, first 2 shown]
	v_add_f64 v[38:39], v[28:29], v[24:25]
	v_add_f64 v[22:23], v[106:107], v[22:23]
	;; [unrolled: 1-line block ×5, first 2 shown]
	s_waitcnt vmcnt(4)
	v_add_f64 v[42:43], v[34:35], v[146:147]
	s_waitcnt vmcnt(2)
	v_add_f64 v[16:17], v[16:17], v[30:31]
	v_add_f64 v[26:27], v[42:43], v[26:27]
	s_waitcnt vmcnt(0)
	v_add_f64 v[30:31], v[16:17], v[4:5]
	buffer_load_dword v4, off, s[48:51], 0 offset:204 ; 4-byte Folded Reload
	buffer_load_dword v5, off, s[48:51], 0 offset:208 ; 4-byte Folded Reload
	v_add_f64 v[16:17], v[136:137], v[12:13]
	v_add_f64 v[12:13], v[140:141], v[90:91]
	s_waitcnt vmcnt(0)
	v_add_f64 v[28:29], v[20:21], v[4:5]
	buffer_load_dword v4, off, s[48:51], 0 offset:112 ; 4-byte Folded Reload
	buffer_load_dword v5, off, s[48:51], 0 offset:116 ; 4-byte Folded Reload
	v_add_f64 v[20:21], v[40:41], v[38:39]
	s_waitcnt vmcnt(0)
	v_add_lshl_u32 v4, v5, v4, 4
	ds_write_b128 v4, v[28:31]
	ds_write_b128 v4, v[24:27] offset:48
	ds_write_b128 v4, v[20:23] offset:96
	;; [unrolled: 1-line block ×10, first 2 shown]
.LBB0_11:
	s_or_b64 exec, exec, s[40:41]
	s_waitcnt vmcnt(0) lgkmcnt(0)
	s_barrier
	ds_read_b128 v[128:131], v255
	ds_read_b128 v[152:155], v255 offset:4224
	ds_read_b128 v[148:151], v255 offset:8448
	;; [unrolled: 1-line block ×6, first 2 shown]
	buffer_load_dword v199, off, s[48:51], 0 ; 4-byte Folded Reload
                                        ; implicit-def: $vgpr160_vgpr161
                                        ; implicit-def: $vgpr164_vgpr165
                                        ; implicit-def: $vgpr132_vgpr133
	s_waitcnt vmcnt(0)
	v_cmp_gt_u16_e64 s[4:5], 33, v199
	s_and_saveexec_b64 s[18:19], s[4:5]
	s_cbranch_execz .LBB0_13
; %bb.12:
	ds_read_b128 v[96:99], v255 offset:3696
	ds_read_b128 v[124:127], v255 offset:7920
	;; [unrolled: 1-line block ×7, first 2 shown]
.LBB0_13:
	s_or_b64 exec, exec, s[18:19]
	s_movk_i32 s16, 0xf9
	v_mul_lo_u16_sdwa v0, v199, s16 dst_sel:DWORD dst_unused:UNUSED_PAD src0_sel:BYTE_0 src1_sel:DWORD
	v_lshrrev_b16_e32 v0, 13, v0
	v_mul_lo_u16_e32 v1, 33, v0
	s_mov_b32 s16, 0xf83f
	v_sub_u16_e32 v3, v199, v1
	v_mul_u32_u24_sdwa v1, v225, s16 dst_sel:DWORD dst_unused:UNUSED_PAD src0_sel:WORD_0 src1_sel:DWORD
	v_lshrrev_b32_e32 v1, 21, v1
	v_mul_lo_u16_e32 v1, 33, v1
	v_sub_u16_e32 v23, v225, v1
	v_and_b32_e32 v198, 0xff, v3
	v_mov_b32_e32 v3, s14
	v_mul_lo_u16_e32 v1, 0x60, v23
	s_movk_i32 s16, 0x60
	v_mov_b32_e32 v4, s15
	v_mov_b32_e32 v2, s15
	v_add_co_u32_e32 v1, vcc, s14, v1
	v_mad_u64_u32 v[3:4], s[18:19], v198, s16, v[3:4]
	v_addc_co_u32_e32 v2, vcc, 0, v2, vcc
	global_load_dwordx4 v[24:27], v[1:2], off offset:496
	global_load_dwordx4 v[32:35], v[1:2], off offset:480
	;; [unrolled: 1-line block ×12, first 2 shown]
	s_mov_b32 s20, 0x37e14327
	s_mov_b32 s18, 0x36b3c0b5
	;; [unrolled: 1-line block ×20, first 2 shown]
	v_mul_u32_u24_e32 v0, 0xe7, v0
	v_add_lshl_u32 v203, v0, v198, 4
	v_lshlrev_b32_e32 v0, 4, v23
	s_waitcnt vmcnt(0) lgkmcnt(0)
	s_barrier
	v_mul_f64 v[17:18], v[166:167], v[46:47]
	v_mul_f64 v[19:20], v[164:165], v[46:47]
	;; [unrolled: 1-line block ×22, first 2 shown]
	v_fma_f64 v[124:125], v[124:125], v[32:33], -v[1:2]
	v_fma_f64 v[126:127], v[126:127], v[32:33], v[3:4]
	v_fma_f64 v[194:195], v[108:109], v[24:25], -v[5:6]
	v_fma_f64 v[196:197], v[110:111], v[24:25], v[7:8]
	;; [unrolled: 2-line block ×11, first 2 shown]
	v_add_f64 v[136:137], v[1:2], v[9:10]
	v_add_f64 v[138:139], v[3:4], v[11:12]
	v_add_f64 v[1:2], v[1:2], -v[9:10]
	v_add_f64 v[3:4], v[3:4], -v[11:12]
	v_add_f64 v[9:10], v[5:6], v[17:18]
	v_add_f64 v[11:12], v[7:8], v[19:20]
	v_add_f64 v[5:6], v[5:6], -v[17:18]
	v_add_f64 v[7:8], v[7:8], -v[19:20]
	;; [unrolled: 4-line block ×4, first 2 shown]
	v_add_f64 v[136:137], v[136:137], -v[17:18]
	v_add_f64 v[138:139], v[138:139], -v[19:20]
	;; [unrolled: 1-line block ×4, first 2 shown]
	v_add_f64 v[144:145], v[13:14], v[5:6]
	v_add_f64 v[146:147], v[15:16], v[7:8]
	v_add_f64 v[150:151], v[15:16], -v[7:8]
	v_add_f64 v[7:8], v[7:8], -v[3:4]
	v_add_f64 v[17:18], v[17:18], v[108:109]
	v_add_f64 v[19:20], v[19:20], v[110:111]
	v_add_f64 v[148:149], v[13:14], -v[5:6]
	v_add_f64 v[13:14], v[1:2], -v[13:14]
	;; [unrolled: 1-line block ×4, first 2 shown]
	v_add_f64 v[108:109], v[144:145], v[1:2]
	v_add_f64 v[110:111], v[146:147], v[3:4]
	v_mul_f64 v[136:137], v[136:137], s[20:21]
	v_mul_f64 v[138:139], v[138:139], s[20:21]
	;; [unrolled: 1-line block ×4, first 2 shown]
	v_add_f64 v[1:2], v[128:129], v[17:18]
	v_add_f64 v[3:4], v[130:131], v[19:20]
	v_mul_f64 v[130:131], v[7:8], s[22:23]
	v_mul_f64 v[21:22], v[134:135], v[42:43]
	;; [unrolled: 1-line block ×6, first 2 shown]
	v_fma_f64 v[9:10], v[9:10], s[18:19], v[136:137]
	v_fma_f64 v[11:12], v[11:12], s[18:19], v[138:139]
	v_fma_f64 v[146:147], v[142:143], s[28:29], -v[146:147]
	v_fma_f64 v[17:18], v[17:18], s[26:27], v[1:2]
	v_fma_f64 v[136:137], v[140:141], s[30:31], -v[136:137]
	v_fma_f64 v[138:139], v[142:143], s[30:31], -v[138:139]
	v_fma_f64 v[142:143], v[15:16], s[34:35], v[150:151]
	v_fma_f64 v[15:16], v[15:16], s[38:39], -v[130:131]
	v_fma_f64 v[144:145], v[140:141], s[28:29], -v[144:145]
	v_fma_f64 v[19:20], v[19:20], s[26:27], v[3:4]
	v_fma_f64 v[140:141], v[13:14], s[34:35], v[148:149]
	v_fma_f64 v[5:6], v[5:6], s[22:23], -v[148:149]
	v_fma_f64 v[7:8], v[7:8], s[22:23], -v[150:151]
	v_fma_f64 v[13:14], v[13:14], s[38:39], -v[128:129]
	v_add_f64 v[136:137], v[136:137], v[17:18]
	v_fma_f64 v[148:149], v[110:111], s[36:37], v[15:16]
	v_fma_f64 v[21:22], v[132:133], v[40:41], -v[21:22]
	v_fma_f64 v[132:133], v[134:135], v[40:41], v[168:169]
	v_add_f64 v[128:129], v[9:10], v[17:18]
	v_add_f64 v[130:131], v[11:12], v[19:20]
	;; [unrolled: 1-line block ×5, first 2 shown]
	v_fma_f64 v[140:141], v[108:109], s[36:37], v[140:141]
	v_fma_f64 v[150:151], v[108:109], s[36:37], v[13:14]
	;; [unrolled: 1-line block ×4, first 2 shown]
	v_add_f64 v[9:10], v[148:149], v[136:137]
	v_add_f64 v[108:109], v[136:137], -v[148:149]
	v_add_f64 v[134:135], v[124:125], v[21:22]
	v_add_f64 v[136:137], v[126:127], v[132:133]
	v_add_f64 v[21:22], v[124:125], -v[21:22]
	v_add_f64 v[124:125], v[126:127], -v[132:133]
	v_add_f64 v[126:127], v[194:195], v[164:165]
	v_add_f64 v[132:133], v[196:197], v[166:167]
	v_fma_f64 v[142:143], v[110:111], s[36:37], v[142:143]
	v_add_f64 v[11:12], v[138:139], -v[150:151]
	v_add_f64 v[13:14], v[144:145], -v[17:18]
	v_add_f64 v[15:16], v[19:20], v[146:147]
	v_add_f64 v[17:18], v[17:18], v[144:145]
	v_add_f64 v[19:20], v[146:147], -v[19:20]
	v_add_f64 v[110:111], v[150:151], v[138:139]
	v_add_f64 v[138:139], v[194:195], -v[164:165]
	v_add_f64 v[144:145], v[196:197], -v[166:167]
	v_add_f64 v[146:147], v[92:93], v[160:161]
	v_add_f64 v[148:149], v[94:95], v[162:163]
	v_add_f64 v[92:93], v[160:161], -v[92:93]
	v_add_f64 v[94:95], v[162:163], -v[94:95]
	v_add_f64 v[150:151], v[126:127], v[134:135]
	v_add_f64 v[152:153], v[132:133], v[136:137]
	v_add_f64 v[154:155], v[126:127], -v[134:135]
	v_add_f64 v[156:157], v[132:133], -v[136:137]
	;; [unrolled: 1-line block ×6, first 2 shown]
	v_add_f64 v[158:159], v[92:93], v[138:139]
	v_add_f64 v[160:161], v[94:95], v[144:145]
	v_add_f64 v[162:163], v[92:93], -v[138:139]
	v_add_f64 v[164:165], v[94:95], -v[144:145]
	v_add_f64 v[146:147], v[146:147], v[150:151]
	v_add_f64 v[148:149], v[148:149], v[152:153]
	v_add_f64 v[138:139], v[138:139], -v[21:22]
	v_add_f64 v[144:145], v[144:145], -v[124:125]
	;; [unrolled: 1-line block ×4, first 2 shown]
	v_add_f64 v[21:22], v[158:159], v[21:22]
	v_add_f64 v[124:125], v[160:161], v[124:125]
	;; [unrolled: 1-line block ×4, first 2 shown]
	v_mul_f64 v[96:97], v[134:135], s[20:21]
	v_mul_f64 v[98:99], v[136:137], s[20:21]
	v_mul_f64 v[134:135], v[126:127], s[18:19]
	v_mul_f64 v[136:137], v[132:133], s[18:19]
	v_mul_f64 v[158:159], v[162:163], s[24:25]
	v_mul_f64 v[160:161], v[164:165], s[24:25]
	v_mul_f64 v[162:163], v[138:139], s[22:23]
	v_mul_f64 v[164:165], v[144:145], s[22:23]
	v_fma_f64 v[146:147], v[146:147], s[26:27], v[92:93]
	v_fma_f64 v[148:149], v[148:149], s[26:27], v[94:95]
	;; [unrolled: 1-line block ×4, first 2 shown]
	v_fma_f64 v[134:135], v[154:155], s[28:29], -v[134:135]
	v_fma_f64 v[136:137], v[156:157], s[28:29], -v[136:137]
	;; [unrolled: 1-line block ×4, first 2 shown]
	v_fma_f64 v[154:155], v[150:151], s[34:35], v[158:159]
	v_fma_f64 v[156:157], v[152:153], s[34:35], v[160:161]
	v_fma_f64 v[138:139], v[138:139], s[22:23], -v[158:159]
	v_fma_f64 v[144:145], v[144:145], s[22:23], -v[160:161]
	v_fma_f64 v[150:151], v[150:151], s[38:39], -v[162:163]
	v_fma_f64 v[152:153], v[152:153], s[38:39], -v[164:165]
	v_add_f64 v[158:159], v[126:127], v[146:147]
	v_add_f64 v[132:133], v[132:133], v[148:149]
	;; [unrolled: 1-line block ×6, first 2 shown]
	v_fma_f64 v[148:149], v[124:125], s[36:37], v[156:157]
	v_fma_f64 v[156:157], v[21:22], s[36:37], v[154:155]
	;; [unrolled: 1-line block ×6, first 2 shown]
	v_add_f64 v[5:6], v[142:143], v[128:129]
	v_add_f64 v[7:8], v[130:131], -v[140:141]
	v_add_f64 v[164:165], v[148:149], v[158:159]
	v_add_f64 v[166:167], v[132:133], -v[156:157]
	v_add_f64 v[160:161], v[168:169], v[136:137]
	v_add_f64 v[162:163], v[146:147], -v[150:151]
	v_add_f64 v[152:153], v[126:127], -v[124:125]
	v_add_f64 v[154:155], v[21:22], v[134:135]
	v_add_f64 v[124:125], v[124:125], v[126:127]
	v_add_f64 v[126:127], v[134:135], -v[21:22]
	v_add_f64 v[215:216], v[136:137], -v[168:169]
	v_add_f64 v[217:218], v[150:151], v[146:147]
	v_add_f64 v[144:145], v[158:159], -v[148:149]
	v_add_f64 v[146:147], v[156:157], v[132:133]
	;; [unrolled: 2-line block ×3, first 2 shown]
	ds_write_b128 v203, v[1:4]
	ds_write_b128 v203, v[5:8] offset:528
	ds_write_b128 v203, v[9:12] offset:1056
	;; [unrolled: 1-line block ×6, first 2 shown]
	buffer_store_dword v0, off, s[48:51], 0 offset:120 ; 4-byte Folded Spill
	s_and_saveexec_b64 s[18:19], s[4:5]
	s_cbranch_execz .LBB0_15
; %bb.14:
	buffer_load_dword v0, off, s[48:51], 0 offset:120 ; 4-byte Folded Reload
	s_waitcnt vmcnt(0)
	ds_write_b128 v0, v[92:95] offset:25872
	ds_write_b128 v0, v[164:167] offset:26400
	ds_write_b128 v0, v[160:163] offset:26928
	ds_write_b128 v0, v[152:155] offset:27456
	ds_write_b128 v0, v[124:127] offset:27984
	ds_write_b128 v0, v[215:218] offset:28512
	ds_write_b128 v0, v[144:147] offset:29040
.LBB0_15:
	s_or_b64 exec, exec, s[18:19]
	v_lshlrev_b32_e32 v136, 4, v224
	s_waitcnt vmcnt(0) lgkmcnt(0)
	s_barrier
	global_load_dwordx4 v[108:111], v136, s[14:15] offset:3648
	global_load_dwordx4 v[96:99], v136, s[14:15] offset:3664
	;; [unrolled: 1-line block ×3, first 2 shown]
	ds_read_b128 v[0:3], v255
	ds_read_b128 v[4:7], v255 offset:3696
	ds_read_b128 v[8:11], v255 offset:7392
	;; [unrolled: 1-line block ×7, first 2 shown]
	v_mov_b32_e32 v137, s15
	v_add_co_u32_e32 v136, vcc, s14, v136
	v_lshlrev_b32_e32 v138, 5, v199
	v_addc_co_u32_e32 v137, vcc, 0, v137, vcc
	v_sub_co_u32_e32 v186, vcc, v136, v138
	s_movk_i32 s18, 0x3000
	v_subbrev_co_u32_e32 v187, vcc, 0, v137, vcc
	v_add_co_u32_e32 v136, vcc, s18, v186
	s_movk_i32 s15, 0x4000
	v_addc_co_u32_e32 v137, vcc, 0, v187, vcc
	v_add_co_u32_e32 v140, vcc, s15, v186
	s_movk_i32 s19, 0x5000
	v_addc_co_u32_e32 v141, vcc, 0, v187, vcc
	;; [unrolled: 3-line block ×3, first 2 shown]
	s_waitcnt vmcnt(0) lgkmcnt(0)
	s_barrier
	s_movk_i32 s14, 0x7380
	s_mov_b32 s18, 0x9000
	s_mov_b32 s19, 0xc000
	;; [unrolled: 1-line block ×3, first 2 shown]
	v_mul_f64 v[138:139], v[10:11], v[110:111]
	v_mul_f64 v[156:157], v[8:9], v[110:111]
	;; [unrolled: 1-line block ×12, first 2 shown]
	v_fma_f64 v[8:9], v[8:9], v[108:109], -v[138:139]
	v_fma_f64 v[10:11], v[10:11], v[108:109], v[156:157]
	v_fma_f64 v[16:17], v[16:17], v[96:97], -v[158:159]
	v_fma_f64 v[18:19], v[18:19], v[96:97], v[168:169]
	;; [unrolled: 2-line block ×6, first 2 shown]
	v_add_f64 v[16:17], v[0:1], -v[16:17]
	v_add_f64 v[18:19], v[2:3], -v[18:19]
	;; [unrolled: 1-line block ×8, first 2 shown]
	v_fma_f64 v[138:139], v[0:1], 2.0, -v[16:17]
	v_fma_f64 v[156:157], v[2:3], 2.0, -v[18:19]
	;; [unrolled: 1-line block ×8, first 2 shown]
	v_add_f64 v[0:1], v[16:17], -v[130:131]
	v_add_f64 v[2:3], v[18:19], v[128:129]
	v_add_f64 v[4:5], v[20:21], -v[134:135]
	v_add_f64 v[6:7], v[22:23], v[132:133]
	v_add_f64 v[8:9], v[138:139], -v[8:9]
	v_add_f64 v[10:11], v[156:157], -v[10:11]
	;; [unrolled: 1-line block ×4, first 2 shown]
	v_fma_f64 v[16:17], v[16:17], 2.0, -v[0:1]
	v_fma_f64 v[18:19], v[18:19], 2.0, -v[2:3]
	;; [unrolled: 1-line block ×8, first 2 shown]
	ds_write_b128 v255, v[0:3] offset:11088
	ds_write_b128 v255, v[4:7] offset:25872
	;; [unrolled: 1-line block ×6, first 2 shown]
	ds_write_b128 v255, v[128:131]
	ds_write_b128 v255, v[132:135] offset:14784
	v_add_co_u32_e32 v0, vcc, s16, v186
	s_waitcnt lgkmcnt(0)
	s_barrier
	global_load_dwordx4 v[136:139], v[136:137], off offset:2448
	s_nop 0
	global_load_dwordx4 v[132:135], v[140:141], off offset:2048
	global_load_dwordx4 v[128:131], v[142:143], off offset:1648
	v_addc_co_u32_e32 v1, vcc, 0, v187, vcc
	global_load_dwordx4 v[140:143], v[0:1], off offset:1248
	ds_read_b128 v[2:5], v255
	ds_read_b128 v[6:9], v255 offset:3696
	ds_read_b128 v[10:13], v255 offset:14784
	;; [unrolled: 1-line block ×7, first 2 shown]
	v_mov_b32_e32 v0, s17
	v_addc_co_u32_e64 v196, vcc, 0, v0, s[6:7]
	v_add_co_u32_e32 v0, vcc, s14, v202
	s_movk_i32 s17, 0x7000
	v_addc_co_u32_e32 v1, vcc, 0, v196, vcc
	v_add_co_u32_e32 v22, vcc, s17, v202
	v_addc_co_u32_e32 v23, vcc, 0, v196, vcc
	v_add_co_u32_e32 v180, vcc, s18, v202
	;; [unrolled: 2-line block ×3, first 2 shown]
	v_addc_co_u32_e32 v183, vcc, 0, v196, vcc
	s_waitcnt vmcnt(3) lgkmcnt(5)
	v_mul_f64 v[176:177], v[12:13], v[138:139]
	v_mul_f64 v[178:179], v[10:11], v[138:139]
	s_waitcnt vmcnt(2) lgkmcnt(4)
	v_mul_f64 v[184:185], v[16:17], v[134:135]
	v_mul_f64 v[186:187], v[14:15], v[134:135]
	;; [unrolled: 3-line block ×4, first 2 shown]
	v_fma_f64 v[10:11], v[10:11], v[136:137], -v[176:177]
	v_fma_f64 v[12:13], v[12:13], v[136:137], v[178:179]
	v_fma_f64 v[14:15], v[14:15], v[132:133], -v[184:185]
	v_fma_f64 v[16:17], v[16:17], v[132:133], v[186:187]
	;; [unrolled: 2-line block ×4, first 2 shown]
	v_add_f64 v[10:11], v[2:3], -v[10:11]
	v_add_f64 v[12:13], v[4:5], -v[12:13]
	;; [unrolled: 1-line block ×8, first 2 shown]
	v_fma_f64 v[2:3], v[2:3], 2.0, -v[10:11]
	v_fma_f64 v[4:5], v[4:5], 2.0, -v[12:13]
	;; [unrolled: 1-line block ×8, first 2 shown]
	ds_write_b128 v255, v[10:13] offset:14784
	ds_write_b128 v255, v[14:17] offset:18480
	;; [unrolled: 1-line block ×4, first 2 shown]
	ds_write_b128 v255, v[2:5]
	ds_write_b128 v255, v[6:9] offset:3696
	ds_write_b128 v255, v[18:21] offset:7392
	ds_write_b128 v255, v[168:171] offset:11088
	s_waitcnt lgkmcnt(0)
	s_barrier
	global_load_dwordx4 v[2:5], v[22:23], off offset:896
	global_load_dwordx4 v[6:9], v[180:181], off offset:2560
	;; [unrolled: 1-line block ×4, first 2 shown]
	v_add_co_u32_e32 v18, vcc, s20, v202
	v_addc_co_u32_e32 v19, vcc, 0, v196, vcc
	global_load_dwordx4 v[18:21], v[18:19], off offset:2160
	s_nop 0
	global_load_dwordx4 v[156:159], v[182:183], off offset:3824
	ds_read_b128 v[176:179], v255
	ds_read_b128 v[180:183], v255 offset:3696
	ds_read_b128 v[184:187], v255 offset:9856
	;; [unrolled: 1-line block ×5, first 2 shown]
	s_waitcnt vmcnt(5) lgkmcnt(5)
	v_mul_f64 v[22:23], v[178:179], v[4:5]
	v_mul_f64 v[4:5], v[176:177], v[4:5]
	s_waitcnt vmcnt(4) lgkmcnt(3)
	v_mul_f64 v[200:201], v[186:187], v[8:9]
	v_mul_f64 v[8:9], v[184:185], v[8:9]
	;; [unrolled: 3-line block ×3, first 2 shown]
	s_waitcnt vmcnt(2)
	v_mul_f64 v[206:207], v[182:183], v[16:17]
	v_mul_f64 v[16:17], v[180:181], v[16:17]
	s_waitcnt vmcnt(1)
	v_mul_f64 v[208:209], v[190:191], v[20:21]
	v_mul_f64 v[210:211], v[188:189], v[20:21]
	s_waitcnt vmcnt(0) lgkmcnt(0)
	v_mul_f64 v[212:213], v[198:199], v[158:159]
	v_mul_f64 v[158:159], v[196:197], v[158:159]
	v_fma_f64 v[20:21], v[176:177], v[2:3], -v[22:23]
	v_fma_f64 v[22:23], v[178:179], v[2:3], v[4:5]
	v_fma_f64 v[2:3], v[184:185], v[6:7], -v[200:201]
	v_fma_f64 v[4:5], v[186:187], v[6:7], v[8:9]
	v_fma_f64 v[6:7], v[192:193], v[10:11], -v[204:205]
	v_fma_f64 v[8:9], v[194:195], v[10:11], v[12:13]
	v_fma_f64 v[10:11], v[180:181], v[14:15], -v[206:207]
	v_fma_f64 v[12:13], v[182:183], v[14:15], v[16:17]
	v_fma_f64 v[14:15], v[188:189], v[18:19], -v[208:209]
	v_fma_f64 v[16:17], v[190:191], v[18:19], v[210:211]
	v_fma_f64 v[176:177], v[196:197], v[156:157], -v[212:213]
	v_fma_f64 v[178:179], v[198:199], v[156:157], v[158:159]
	ds_write_b128 v255, v[20:23]
	ds_write_b128 v255, v[2:5] offset:9856
	ds_write_b128 v255, v[6:9] offset:19712
	;; [unrolled: 1-line block ×5, first 2 shown]
	s_and_saveexec_b64 s[6:7], s[0:1]
	s_cbranch_execz .LBB0_17
; %bb.16:
	v_add_co_u32_e32 v2, vcc, 0x1000, v0
	v_addc_co_u32_e32 v3, vcc, 0, v1, vcc
	v_add_co_u32_e32 v6, vcc, s16, v0
	v_addc_co_u32_e32 v7, vcc, 0, v1, vcc
	v_add_co_u32_e32 v0, vcc, s15, v0
	global_load_dwordx4 v[2:5], v[2:3], off offset:3296
	v_addc_co_u32_e32 v1, vcc, 0, v1, vcc
	global_load_dwordx4 v[10:13], v[0:1], off offset:864
	s_nop 0
	global_load_dwordx4 v[6:9], v[6:7], off offset:2528
	ds_read_b128 v[14:17], v255 offset:27104
	ds_read_b128 v[18:21], v255 offset:7392
	;; [unrolled: 1-line block ×3, first 2 shown]
	s_waitcnt vmcnt(2) lgkmcnt(1)
	v_mul_f64 v[22:23], v[20:21], v[4:5]
	v_mul_f64 v[4:5], v[18:19], v[4:5]
	s_waitcnt vmcnt(1) lgkmcnt(0)
	v_mul_f64 v[176:177], v[158:159], v[12:13]
	v_mul_f64 v[178:179], v[156:157], v[12:13]
	s_waitcnt vmcnt(0)
	v_mul_f64 v[0:1], v[16:17], v[8:9]
	v_mul_f64 v[180:181], v[14:15], v[8:9]
	v_fma_f64 v[12:13], v[18:19], v[2:3], -v[22:23]
	v_fma_f64 v[8:9], v[156:157], v[10:11], -v[176:177]
	v_fma_f64 v[10:11], v[158:159], v[10:11], v[178:179]
	v_fma_f64 v[0:1], v[14:15], v[6:7], -v[0:1]
	v_fma_f64 v[14:15], v[20:21], v[2:3], v[4:5]
	v_fma_f64 v[2:3], v[16:17], v[6:7], v[180:181]
	ds_write_b128 v255, v[12:15] offset:7392
	ds_write_b128 v255, v[8:11] offset:17248
	;; [unrolled: 1-line block ×3, first 2 shown]
.LBB0_17:
	s_or_b64 exec, exec, s[6:7]
	s_waitcnt lgkmcnt(0)
	s_barrier
	ds_read_b128 v[176:179], v255
	ds_read_b128 v[184:187], v255 offset:3696
	ds_read_b128 v[180:183], v255 offset:9856
	;; [unrolled: 1-line block ×5, first 2 shown]
	s_and_saveexec_b64 s[6:7], s[0:1]
	s_cbranch_execz .LBB0_19
; %bb.18:
	ds_read_b128 v[168:171], v255 offset:7392
	ds_read_b128 v[172:175], v255 offset:17248
	;; [unrolled: 1-line block ×3, first 2 shown]
.LBB0_19:
	s_or_b64 exec, exec, s[6:7]
	s_waitcnt lgkmcnt(1)
	v_add_f64 v[0:1], v[180:181], v[156:157]
	v_add_f64 v[2:3], v[176:177], v[180:181]
	s_waitcnt lgkmcnt(0)
	v_add_f64 v[8:9], v[198:199], v[194:195]
	v_add_f64 v[4:5], v[182:183], -v[158:159]
	v_add_f64 v[6:7], v[182:183], v[158:159]
	v_add_f64 v[12:13], v[180:181], -v[156:157]
	s_mov_b32 s6, 0xe8584caa
	s_mov_b32 s7, 0xbfebb67a
	v_fma_f64 v[0:1], v[0:1], -0.5, v[176:177]
	v_add_f64 v[156:157], v[2:3], v[156:157]
	v_fma_f64 v[2:3], v[8:9], -0.5, v[184:185]
	v_add_f64 v[8:9], v[200:201], -v[196:197]
	s_mov_b32 s15, 0x3febb67a
	s_mov_b32 s14, s6
	v_add_f64 v[10:11], v[178:179], v[182:183]
	v_add_f64 v[14:15], v[184:185], v[198:199]
	v_fma_f64 v[6:7], v[6:7], -0.5, v[178:179]
	v_fma_f64 v[176:177], v[4:5], s[6:7], v[0:1]
	v_fma_f64 v[180:181], v[4:5], s[14:15], v[0:1]
	v_add_f64 v[0:1], v[200:201], v[196:197]
	v_add_f64 v[4:5], v[172:173], v[164:165]
	v_fma_f64 v[188:189], v[8:9], s[6:7], v[2:3]
	v_fma_f64 v[192:193], v[8:9], s[14:15], v[2:3]
	v_add_f64 v[2:3], v[174:175], v[166:167]
	v_add_f64 v[158:159], v[10:11], v[158:159]
	;; [unrolled: 4-line block ×3, first 2 shown]
	v_fma_f64 v[0:1], v[0:1], -0.5, v[186:187]
	v_add_f64 v[8:9], v[198:199], -v[194:195]
	v_add_f64 v[10:11], v[172:173], v[168:169]
	v_fma_f64 v[4:5], v[4:5], -0.5, v[168:169]
	v_add_f64 v[12:13], v[174:175], -v[166:167]
	v_add_f64 v[14:15], v[174:175], v[170:171]
	;; [unrolled: 3-line block ×3, first 2 shown]
	v_fma_f64 v[190:191], v[8:9], s[14:15], v[0:1]
	v_fma_f64 v[194:195], v[8:9], s[6:7], v[0:1]
	v_add_f64 v[164:165], v[164:165], v[10:11]
	v_fma_f64 v[168:169], v[12:13], s[6:7], v[4:5]
	v_fma_f64 v[172:173], v[12:13], s[14:15], v[4:5]
	v_add_f64 v[166:167], v[166:167], v[14:15]
	v_fma_f64 v[170:171], v[16:17], s[14:15], v[2:3]
	v_fma_f64 v[174:175], v[16:17], s[6:7], v[2:3]
	s_barrier
	ds_write_b128 v254, v[156:159]
	ds_write_b128 v254, v[176:179] offset:16
	ds_write_b128 v254, v[180:183] offset:32
	ds_write_b128 v221, v[184:187]
	ds_write_b128 v221, v[188:191] offset:16
	ds_write_b128 v221, v[192:195] offset:32
	s_mov_b64 s[6:7], exec
	buffer_load_dword v204, off, s[48:51], 0 ; 4-byte Folded Reload
	s_and_b64 s[14:15], s[6:7], s[0:1]
	s_mov_b64 exec, s[14:15]
	s_cbranch_execz .LBB0_21
; %bb.20:
	v_lshlrev_b32_e32 v0, 4, v223
	ds_write_b128 v0, v[164:167]
	ds_write_b128 v0, v[168:171] offset:16
	ds_write_b128 v0, v[172:175] offset:32
.LBB0_21:
	s_or_b64 exec, exec, s[6:7]
	s_waitcnt vmcnt(0) lgkmcnt(0)
	s_barrier
	s_and_saveexec_b64 s[6:7], s[2:3]
	s_cbranch_execz .LBB0_23
; %bb.22:
	ds_read_b128 v[156:159], v255
	ds_read_b128 v[176:179], v255 offset:2688
	ds_read_b128 v[180:183], v255 offset:5376
	;; [unrolled: 1-line block ×10, first 2 shown]
.LBB0_23:
	s_or_b64 exec, exec, s[6:7]
	s_waitcnt lgkmcnt(9)
	v_mul_f64 v[0:1], v[66:67], v[178:179]
	s_mov_b32 s22, 0x7f775887
	s_mov_b32 s24, 0xbb3a28a1
	;; [unrolled: 1-line block ×7, first 2 shown]
	v_fma_f64 v[200:201], v[64:65], v[176:177], v[0:1]
	v_mul_f64 v[0:1], v[66:67], v[176:177]
	s_mov_b32 s26, 0x8eee2c13
	s_mov_b32 s7, 0x3feaeb8c
	;; [unrolled: 1-line block ×7, first 2 shown]
	v_fma_f64 v[207:208], v[64:65], v[178:179], -v[0:1]
	s_waitcnt lgkmcnt(8)
	v_mul_f64 v[0:1], v[62:63], v[182:183]
	s_mov_b32 s28, 0x9bcd5057
	s_mov_b32 s29, 0xbfeeb42a
	;; [unrolled: 1-line block ×7, first 2 shown]
	v_fma_f64 v[176:177], v[60:61], v[180:181], v[0:1]
	v_mul_f64 v[0:1], v[62:63], v[180:181]
	s_mov_b32 s30, s20
	s_mov_b32 s37, 0x3fed1bb4
	;; [unrolled: 1-line block ×7, first 2 shown]
	v_fma_f64 v[180:181], v[60:61], v[182:183], -v[0:1]
	s_waitcnt lgkmcnt(7)
	v_mul_f64 v[0:1], v[58:59], v[186:187]
	v_fma_f64 v[178:179], v[56:57], v[184:185], v[0:1]
	v_mul_f64 v[0:1], v[58:59], v[184:185]
	v_fma_f64 v[211:212], v[56:57], v[186:187], -v[0:1]
	s_waitcnt lgkmcnt(6)
	v_mul_f64 v[0:1], v[54:55], v[190:191]
	v_fma_f64 v[209:210], v[52:53], v[188:189], v[0:1]
	v_mul_f64 v[0:1], v[54:55], v[188:189]
	;; [unrolled: 5-line block ×5, first 2 shown]
	v_add_f64 v[253:254], v[209:210], v[76:77]
	v_fma_f64 v[78:79], v[68:69], v[170:171], -v[0:1]
	s_waitcnt lgkmcnt(2)
	v_mul_f64 v[0:1], v[82:83], v[174:175]
	v_fma_f64 v[72:73], v[80:81], v[172:173], v[0:1]
	v_mul_f64 v[0:1], v[82:83], v[172:173]
	v_add_f64 v[223:224], v[178:179], v[72:73]
	v_fma_f64 v[74:75], v[80:81], v[174:175], -v[0:1]
	s_waitcnt lgkmcnt(1)
	v_mul_f64 v[0:1], v[86:87], v[162:163]
	v_add_f64 v[245:246], v[178:179], -v[72:73]
	v_add_f64 v[82:83], v[211:212], -v[74:75]
	v_fma_f64 v[68:69], v[84:85], v[160:161], v[0:1]
	v_mul_f64 v[0:1], v[86:87], v[160:161]
	v_add_f64 v[235:236], v[211:212], v[74:75]
	v_add_f64 v[160:161], v[186:187], -v[164:165]
	v_mul_f64 v[251:252], v[82:83], s[18:19]
	v_add_f64 v[205:206], v[68:69], v[176:177]
	v_fma_f64 v[70:71], v[84:85], v[162:163], -v[0:1]
	s_waitcnt lgkmcnt(0)
	v_mul_f64 v[0:1], v[50:51], v[154:155]
	v_add_f64 v[225:226], v[176:177], -v[68:69]
	v_mul_f64 v[20:21], v[235:236], s[28:29]
	v_mul_f64 v[231:232], v[235:236], s[14:15]
	v_add_f64 v[84:85], v[188:189], v[78:79]
	v_mul_f64 v[86:87], v[160:161], s[40:41]
	v_mul_f64 v[162:163], v[160:161], s[36:37]
	v_add_f64 v[213:214], v[70:71], v[180:181]
	v_fma_f64 v[64:65], v[48:49], v[152:153], v[0:1]
	v_mul_f64 v[0:1], v[50:51], v[152:153]
	v_add_f64 v[229:230], v[180:181], -v[70:71]
	v_add_f64 v[152:153], v[182:183], v[184:185]
	v_mul_f64 v[239:240], v[84:85], s[22:23]
	v_mul_f64 v[243:244], v[84:85], s[16:17]
	;; [unrolled: 1-line block ×4, first 2 shown]
	v_add_f64 v[192:193], v[200:201], -v[64:65]
	v_fma_f64 v[80:81], v[48:49], v[154:155], -v[0:1]
	v_add_f64 v[154:155], v[64:65], v[200:201]
	v_mul_f64 v[194:195], v[229:230], s[26:27]
	v_mul_f64 v[221:222], v[213:214], s[14:15]
	;; [unrolled: 1-line block ×4, first 2 shown]
	v_add_f64 v[190:191], v[207:208], -v[80:81]
	v_add_f64 v[168:169], v[80:81], v[207:208]
	v_fma_f64 v[16:17], v[205:206], s[14:15], -v[194:195]
	v_mul_f64 v[12:13], v[190:191], s[24:25]
	buffer_store_dword v12, off, s[48:51], 0 offset:132 ; 4-byte Folded Spill
	s_nop 0
	buffer_store_dword v13, off, s[48:51], 0 offset:136 ; 4-byte Folded Spill
	buffer_store_dword v18, off, s[48:51], 0 offset:124 ; 4-byte Folded Spill
	s_nop 0
	buffer_store_dword v19, off, s[48:51], 0 offset:128 ; 4-byte Folded Spill
	v_mul_f64 v[148:149], v[190:191], s[18:19]
	v_mul_f64 v[150:151], v[168:169], s[6:7]
	;; [unrolled: 1-line block ×7, first 2 shown]
	v_fma_f64 v[0:1], v[154:155], s[6:7], -v[148:149]
	v_fma_f64 v[2:3], v[192:193], s[18:19], v[150:151]
	v_fma_f64 v[4:5], v[154:155], s[14:15], -v[174:175]
	v_fma_f64 v[6:7], v[192:193], s[26:27], v[172:173]
	;; [unrolled: 2-line block ×3, first 2 shown]
	v_fma_f64 v[14:15], v[192:193], s[24:25], v[198:199]
	v_add_f64 v[0:1], v[156:157], v[0:1]
	v_add_f64 v[2:3], v[158:159], v[2:3]
	;; [unrolled: 1-line block ×8, first 2 shown]
	v_fma_f64 v[16:17], v[225:226], s[26:27], v[221:222]
	v_add_f64 v[2:3], v[16:17], v[2:3]
	v_fma_f64 v[16:17], v[205:206], s[22:23], -v[219:220]
	v_add_f64 v[4:5], v[16:17], v[4:5]
	v_fma_f64 v[12:13], v[154:155], s[22:23], -v[12:13]
	v_fma_f64 v[16:17], v[225:226], s[24:25], v[18:19]
	v_mul_f64 v[18:19], v[213:214], s[28:29]
	v_add_f64 v[12:13], v[156:157], v[12:13]
	v_add_f64 v[6:7], v[16:17], v[6:7]
	v_mul_f64 v[16:17], v[229:230], s[34:35]
	buffer_store_dword v16, off, s[48:51], 0 offset:140 ; 4-byte Folded Spill
	s_nop 0
	buffer_store_dword v17, off, s[48:51], 0 offset:144 ; 4-byte Folded Spill
	buffer_store_dword v18, off, s[48:51], 0 offset:164 ; 4-byte Folded Spill
	s_nop 0
	buffer_store_dword v19, off, s[48:51], 0 offset:168 ; 4-byte Folded Spill
	v_fma_f64 v[16:17], v[205:206], s[28:29], -v[16:17]
	v_add_f64 v[8:9], v[16:17], v[8:9]
	v_fma_f64 v[16:17], v[225:226], s[34:35], v[18:19]
	v_mul_f64 v[18:19], v[235:236], s[16:17]
	v_add_f64 v[10:11], v[16:17], v[10:11]
	v_mul_f64 v[16:17], v[229:230], s[30:31]
	buffer_store_dword v16, off, s[48:51], 0 offset:180 ; 4-byte Folded Spill
	s_nop 0
	buffer_store_dword v17, off, s[48:51], 0 offset:184 ; 4-byte Folded Spill
	v_fma_f64 v[16:17], v[205:206], s[16:17], -v[16:17]
	v_add_f64 v[12:13], v[16:17], v[12:13]
	v_fma_f64 v[16:17], v[225:226], s[30:31], v[233:234]
	v_add_f64 v[14:15], v[16:17], v[14:15]
	v_mul_f64 v[16:17], v[82:83], s[20:21]
	buffer_store_dword v16, off, s[48:51], 0 offset:148 ; 4-byte Folded Spill
	s_nop 0
	buffer_store_dword v17, off, s[48:51], 0 offset:152 ; 4-byte Folded Spill
	buffer_store_dword v18, off, s[48:51], 0 offset:156 ; 4-byte Folded Spill
	s_nop 0
	buffer_store_dword v19, off, s[48:51], 0 offset:160 ; 4-byte Folded Spill
	v_fma_f64 v[16:17], v[223:224], s[16:17], -v[16:17]
	v_add_f64 v[0:1], v[16:17], v[0:1]
	v_fma_f64 v[16:17], v[245:246], s[20:21], v[18:19]
	v_add_f64 v[16:17], v[16:17], v[2:3]
	v_mul_f64 v[2:3], v[82:83], s[34:35]
	buffer_store_dword v2, off, s[48:51], 0 offset:172 ; 4-byte Folded Spill
	s_nop 0
	buffer_store_dword v3, off, s[48:51], 0 offset:176 ; 4-byte Folded Spill
	buffer_store_dword v20, off, s[48:51], 0 offset:188 ; 4-byte Folded Spill
	s_nop 0
	buffer_store_dword v21, off, s[48:51], 0 offset:192 ; 4-byte Folded Spill
	v_fma_f64 v[2:3], v[223:224], s[28:29], -v[2:3]
	v_add_f64 v[18:19], v[2:3], v[4:5]
	v_fma_f64 v[2:3], v[245:246], s[34:35], v[20:21]
	v_fma_f64 v[4:5], v[223:224], s[6:7], -v[251:252]
	v_add_f64 v[6:7], v[2:3], v[6:7]
	v_mul_f64 v[2:3], v[82:83], s[36:37]
	buffer_store_dword v2, off, s[48:51], 0 offset:196 ; 4-byte Folded Spill
	s_nop 0
	buffer_store_dword v3, off, s[48:51], 0 offset:200 ; 4-byte Folded Spill
	v_add_f64 v[22:23], v[4:5], v[12:13]
	s_waitcnt vmcnt(0)
	s_barrier
	v_fma_f64 v[2:3], v[223:224], s[14:15], -v[2:3]
	v_add_f64 v[20:21], v[2:3], v[8:9]
	v_fma_f64 v[2:3], v[245:246], s[36:37], v[231:232]
	v_add_f64 v[8:9], v[209:210], -v[76:77]
	v_add_f64 v[10:11], v[2:3], v[10:11]
	v_mul_f64 v[2:3], v[235:236], s[6:7]
	v_fma_f64 v[4:5], v[245:246], s[18:19], v[2:3]
	v_add_f64 v[14:15], v[4:5], v[14:15]
	v_add_f64 v[4:5], v[188:189], -v[78:79]
	v_mul_f64 v[237:238], v[4:5], s[24:25]
	v_mul_f64 v[241:242], v[4:5], s[30:31]
	;; [unrolled: 1-line block ×3, first 2 shown]
	v_fma_f64 v[12:13], v[253:254], s[22:23], -v[237:238]
	v_add_f64 v[48:49], v[12:13], v[0:1]
	v_fma_f64 v[0:1], v[8:9], s[24:25], v[239:240]
	v_mul_f64 v[12:13], v[4:5], s[40:41]
	v_add_f64 v[16:17], v[0:1], v[16:17]
	v_fma_f64 v[0:1], v[253:254], s[16:17], -v[241:242]
	v_add_f64 v[50:51], v[0:1], v[18:19]
	v_fma_f64 v[0:1], v[8:9], s[30:31], v[243:244]
	v_mul_f64 v[18:19], v[84:85], s[28:29]
	v_add_f64 v[58:59], v[0:1], v[6:7]
	v_fma_f64 v[0:1], v[253:254], s[6:7], -v[247:248]
	v_fma_f64 v[6:7], v[152:153], s[28:29], -v[86:87]
	v_add_f64 v[60:61], v[0:1], v[20:21]
	v_fma_f64 v[0:1], v[8:9], s[18:19], v[249:250]
	v_add_f64 v[20:21], v[164:165], v[186:187]
	v_add_f64 v[52:53], v[6:7], v[48:49]
	;; [unrolled: 1-line block ×3, first 2 shown]
	v_fma_f64 v[0:1], v[253:254], s[28:29], -v[12:13]
	v_mul_f64 v[10:11], v[20:21], s[6:7]
	v_mul_f64 v[166:167], v[20:21], s[14:15]
	v_add_f64 v[66:67], v[0:1], v[22:23]
	v_fma_f64 v[0:1], v[8:9], s[40:41], v[18:19]
	v_add_f64 v[22:23], v[184:185], -v[182:183]
	v_add_f64 v[196:197], v[0:1], v[14:15]
	v_mul_f64 v[0:1], v[20:21], s[28:29]
	v_fma_f64 v[6:7], v[22:23], s[40:41], v[0:1]
	v_add_f64 v[54:55], v[6:7], v[16:17]
	v_mul_f64 v[6:7], v[160:161], s[42:43]
	v_mul_f64 v[16:17], v[20:21], s[22:23]
	v_fma_f64 v[14:15], v[152:153], s[6:7], -v[6:7]
	v_add_f64 v[56:57], v[14:15], v[50:51]
	v_fma_f64 v[14:15], v[22:23], s[42:43], v[10:11]
	v_fma_f64 v[50:51], v[22:23], s[36:37], v[166:167]
	v_add_f64 v[58:59], v[14:15], v[58:59]
	v_mul_f64 v[14:15], v[160:161], s[24:25]
	v_add_f64 v[50:51], v[50:51], v[196:197]
	v_fma_f64 v[48:49], v[152:153], s[22:23], -v[14:15]
	v_add_f64 v[60:61], v[48:49], v[60:61]
	v_fma_f64 v[48:49], v[22:23], s[24:25], v[16:17]
	v_add_f64 v[62:63], v[48:49], v[62:63]
	v_fma_f64 v[48:49], v[152:153], s[14:15], -v[162:163]
	v_add_f64 v[48:49], v[48:49], v[66:67]
	s_and_saveexec_b64 s[38:39], s[2:3]
	s_cbranch_execz .LBB0_25
; %bb.24:
	v_mul_f64 v[66:67], v[154:155], s[6:7]
	v_mul_f64 v[190:191], v[190:191], s[40:41]
	;; [unrolled: 1-line block ×4, first 2 shown]
	v_mov_b32_e32 v196, v219
	v_mov_b32_e32 v197, v220
	;; [unrolled: 1-line block ×4, first 2 shown]
	buffer_store_dword v66, off, s[48:51], 0 offset:236 ; 4-byte Folded Spill
	s_nop 0
	buffer_store_dword v67, off, s[48:51], 0 offset:240 ; 4-byte Folded Spill
	v_mul_f64 v[66:67], v[192:193], s[18:19]
	v_mul_f64 v[4:5], v[4:5], s[36:37]
	;; [unrolled: 1-line block ×3, first 2 shown]
	buffer_store_dword v66, off, s[48:51], 0 offset:260 ; 4-byte Folded Spill
	s_nop 0
	buffer_store_dword v67, off, s[48:51], 0 offset:264 ; 4-byte Folded Spill
	v_mul_f64 v[66:67], v[154:155], s[14:15]
	buffer_store_dword v66, off, s[48:51], 0 offset:244 ; 4-byte Folded Spill
	s_nop 0
	buffer_store_dword v67, off, s[48:51], 0 offset:248 ; 4-byte Folded Spill
	buffer_store_dword v68, off, s[48:51], 0 offset:220 ; 4-byte Folded Spill
	s_nop 0
	buffer_store_dword v69, off, s[48:51], 0 offset:224 ; 4-byte Folded Spill
	v_mul_f64 v[66:67], v[154:155], s[16:17]
	v_mul_f64 v[68:69], v[192:193], s[26:27]
	buffer_store_dword v66, off, s[48:51], 0 offset:284 ; 4-byte Folded Spill
	s_nop 0
	buffer_store_dword v67, off, s[48:51], 0 offset:288 ; 4-byte Folded Spill
	buffer_store_dword v70, off, s[48:51], 0 offset:228 ; 4-byte Folded Spill
	s_nop 0
	buffer_store_dword v71, off, s[48:51], 0 offset:232 ; 4-byte Folded Spill
	v_mul_f64 v[66:67], v[205:206], s[14:15]
	buffer_store_dword v176, off, s[48:51], 0 offset:276 ; 4-byte Folded Spill
	s_nop 0
	buffer_store_dword v177, off, s[48:51], 0 offset:280 ; 4-byte Folded Spill
	buffer_store_dword v178, off, s[48:51], 0 offset:268 ; 4-byte Folded Spill
	s_nop 0
	buffer_store_dword v179, off, s[48:51], 0 offset:272 ; 4-byte Folded Spill
	v_mul_f64 v[70:71], v[192:193], s[20:21]
	v_mul_f64 v[178:179], v[192:193], s[24:25]
	;; [unrolled: 1-line block ×4, first 2 shown]
	v_add_f64 v[68:69], v[172:173], -v[68:69]
	buffer_store_dword v66, off, s[48:51], 0 offset:252 ; 4-byte Folded Spill
	s_nop 0
	buffer_store_dword v67, off, s[48:51], 0 offset:256 ; 4-byte Folded Spill
	v_mul_f64 v[66:67], v[225:226], s[26:27]
	buffer_store_dword v66, off, s[48:51], 0 offset:308 ; 4-byte Folded Spill
	s_nop 0
	buffer_store_dword v67, off, s[48:51], 0 offset:312 ; 4-byte Folded Spill
	v_mul_f64 v[66:67], v[205:206], s[22:23]
	v_add_f64 v[178:179], v[198:199], -v[178:179]
	v_mul_f64 v[198:199], v[253:254], s[28:29]
	v_add_f64 v[70:71], v[227:228], -v[70:71]
	v_add_f64 v[68:69], v[158:159], v[68:69]
	buffer_store_dword v66, off, s[48:51], 0 offset:324 ; 4-byte Folded Spill
	s_nop 0
	buffer_store_dword v67, off, s[48:51], 0 offset:328 ; 4-byte Folded Spill
	buffer_store_dword v76, off, s[48:51], 0 offset:292 ; 4-byte Folded Spill
	s_nop 0
	buffer_store_dword v77, off, s[48:51], 0 offset:296 ; 4-byte Folded Spill
	v_mul_f64 v[66:67], v[205:206], s[28:29]
	v_mul_f64 v[76:77], v[225:226], s[24:25]
	v_add_f64 v[178:179], v[158:159], v[178:179]
	buffer_store_dword v66, off, s[48:51], 0 offset:396 ; 4-byte Folded Spill
	s_nop 0
	buffer_store_dword v67, off, s[48:51], 0 offset:400 ; 4-byte Folded Spill
	buffer_store_dword v78, off, s[48:51], 0 offset:300 ; 4-byte Folded Spill
	s_nop 0
	buffer_store_dword v79, off, s[48:51], 0 offset:304 ; 4-byte Folded Spill
	v_mul_f64 v[66:67], v[223:224], s[16:17]
	buffer_store_dword v164, off, s[48:51], 0 offset:316 ; 4-byte Folded Spill
	s_nop 0
	buffer_store_dword v165, off, s[48:51], 0 offset:320 ; 4-byte Folded Spill
	buffer_store_dword v182, off, s[48:51], 0 offset:340 ; 4-byte Folded Spill
	s_nop 0
	buffer_store_dword v183, off, s[48:51], 0 offset:344 ; 4-byte Folded Spill
	;; [unrolled: 3-line block ×3, first 2 shown]
	v_mul_f64 v[182:183], v[225:226], s[42:43]
	v_fma_f64 v[184:185], v[168:169], s[28:29], v[192:193]
	v_mul_f64 v[164:165], v[205:206], s[16:17]
	v_mul_f64 v[78:79], v[225:226], s[34:35]
	buffer_store_dword v66, off, s[48:51], 0 offset:332 ; 4-byte Folded Spill
	s_nop 0
	buffer_store_dword v67, off, s[48:51], 0 offset:336 ; 4-byte Folded Spill
	v_mul_f64 v[66:67], v[245:246], s[20:21]
	v_mul_f64 v[225:226], v[225:226], s[30:31]
	v_fma_f64 v[168:169], v[168:169], s[28:29], -v[192:193]
	v_mul_f64 v[192:193], v[253:254], s[16:17]
	v_add_f64 v[184:185], v[158:159], v[184:185]
	buffer_store_dword v66, off, s[48:51], 0 offset:372 ; 4-byte Folded Spill
	s_nop 0
	buffer_store_dword v67, off, s[48:51], 0 offset:376 ; 4-byte Folded Spill
	v_mul_f64 v[66:67], v[223:224], s[28:29]
	v_add_f64 v[168:169], v[158:159], v[168:169]
	v_add_f64 v[225:226], v[233:234], -v[225:226]
	v_mul_f64 v[233:234], v[152:153], s[6:7]
	buffer_store_dword v66, off, s[48:51], 0 offset:380 ; 4-byte Folded Spill
	s_nop 0
	buffer_store_dword v67, off, s[48:51], 0 offset:384 ; 4-byte Folded Spill
	buffer_store_dword v144, off, s[48:51], 0 offset:204 ; 4-byte Folded Spill
	s_nop 0
	buffer_store_dword v145, off, s[48:51], 0 offset:208 ; 4-byte Folded Spill
	buffer_store_dword v146, off, s[48:51], 0 offset:212 ; 4-byte Folded Spill
	;; [unrolled: 1-line block ×3, first 2 shown]
	v_mov_b32_e32 v147, v127
	v_mov_b32_e32 v146, v126
	;; [unrolled: 1-line block ×8, first 2 shown]
	buffer_store_dword v221, off, s[48:51], 0 offset:420 ; 4-byte Folded Spill
	s_nop 0
	buffer_store_dword v222, off, s[48:51], 0 offset:424 ; 4-byte Folded Spill
	buffer_store_dword v174, off, s[48:51], 0 offset:428 ; 4-byte Folded Spill
	s_nop 0
	buffer_store_dword v175, off, s[48:51], 0 offset:432 ; 4-byte Folded Spill
	v_mov_b32_e32 v211, v200
	v_mul_f64 v[200:201], v[245:246], s[24:25]
	v_mov_b32_e32 v127, v171
	v_fma_f64 v[170:171], v[213:214], s[6:7], v[182:183]
	v_fma_f64 v[174:175], v[154:155], s[28:29], -v[190:191]
	buffer_store_dword v80, off, s[48:51], 0 offset:348 ; 4-byte Folded Spill
	s_nop 0
	buffer_store_dword v81, off, s[48:51], 0 offset:352 ; 4-byte Folded Spill
	buffer_store_dword v194, off, s[48:51], 0 offset:436 ; 4-byte Folded Spill
	s_nop 0
	buffer_store_dword v195, off, s[48:51], 0 offset:440 ; 4-byte Folded Spill
	;; [unrolled: 3-line block ×4, first 2 shown]
	v_fma_f64 v[64:65], v[235:236], s[22:23], v[200:201]
	v_mul_f64 v[66:67], v[253:254], s[22:23]
	v_add_f64 v[170:171], v[170:171], v[184:185]
	v_fma_f64 v[184:185], v[205:206], s[6:7], -v[229:230]
	v_add_f64 v[174:175], v[156:157], v[174:175]
	v_mul_f64 v[221:222], v[245:246], s[34:35]
	v_mul_f64 v[194:195], v[245:246], s[36:37]
	v_mul_f64 v[245:246], v[245:246], s[18:19]
	v_fma_f64 v[154:155], v[154:155], s[28:29], v[190:191]
	buffer_store_dword v74, off, s[48:51], 0 offset:404 ; 4-byte Folded Spill
	s_nop 0
	buffer_store_dword v75, off, s[48:51], 0 offset:408 ; 4-byte Folded Spill
	v_add_f64 v[64:65], v[64:65], v[170:171]
	v_fma_f64 v[170:171], v[223:224], s[22:23], -v[82:83]
	v_add_f64 v[174:175], v[184:185], v[174:175]
	buffer_store_dword v66, off, s[48:51], 0 offset:412 ; 4-byte Folded Spill
	s_nop 0
	buffer_store_dword v67, off, s[48:51], 0 offset:416 ; 4-byte Folded Spill
	v_mul_f64 v[72:73], v[8:9], s[36:37]
	v_mul_f64 v[184:185], v[8:9], s[24:25]
	v_fma_f64 v[182:183], v[213:214], s[6:7], -v[182:183]
	v_mul_f64 v[213:214], v[8:9], s[30:31]
	v_fma_f64 v[204:205], v[205:206], s[6:7], v[229:230]
	v_add_f64 v[245:246], v[2:3], -v[245:246]
	v_add_f64 v[170:171], v[170:171], v[174:175]
	v_mul_f64 v[174:175], v[8:9], s[18:19]
	v_mul_f64 v[8:9], v[8:9], s[40:41]
	buffer_load_dword v2, off, s[48:51], 0 offset:132 ; 4-byte Folded Reload
	buffer_load_dword v3, off, s[48:51], 0 offset:136 ; 4-byte Folded Reload
	v_add_f64 v[154:155], v[156:157], v[154:155]
	v_mov_b32_e32 v66, v148
	v_mov_b32_e32 v67, v149
	;; [unrolled: 1-line block ×5, first 2 shown]
	v_add_f64 v[8:9], v[18:19], -v[8:9]
	v_mov_b32_e32 v151, v218
	v_add_f64 v[154:155], v[204:205], v[154:155]
	buffer_load_dword v204, off, s[48:51], 0 ; 4-byte Folded Reload
	buffer_load_dword v18, off, s[48:51], 0 offset:180 ; 4-byte Folded Reload
	buffer_load_dword v19, off, s[48:51], 0 offset:184 ; 4-byte Folded Reload
	v_mov_b32_e32 v216, v208
	v_mov_b32_e32 v215, v207
	v_fma_f64 v[207:208], v[84:85], s[14:15], v[72:73]
	v_mul_f64 v[229:230], v[22:23], s[20:21]
	v_fma_f64 v[200:201], v[235:236], s[22:23], -v[200:201]
	v_add_f64 v[168:169], v[182:183], v[168:169]
	v_add_f64 v[178:179], v[225:226], v[178:179]
	v_mul_f64 v[182:183], v[22:23], s[40:41]
	v_mul_f64 v[190:191], v[22:23], s[42:43]
	v_mul_f64 v[225:226], v[22:23], s[24:25]
	v_add_f64 v[64:65], v[207:208], v[64:65]
	v_fma_f64 v[72:73], v[84:85], s[14:15], -v[72:73]
	v_mul_f64 v[22:23], v[22:23], s[36:37]
	v_fma_f64 v[82:83], v[223:224], s[22:23], v[82:83]
	v_mul_f64 v[74:75], v[223:224], s[6:7]
	v_mul_f64 v[84:85], v[152:153], s[14:15]
	v_mul_f64 v[80:81], v[223:224], s[14:15]
	v_mul_f64 v[217:218], v[152:153], s[22:23]
	v_mul_f64 v[235:236], v[152:153], s[28:29]
	v_add_f64 v[0:1], v[0:1], -v[182:183]
	v_add_f64 v[22:23], v[166:167], -v[22:23]
	v_mul_f64 v[207:208], v[253:254], s[6:7]
	v_add_f64 v[74:75], v[74:75], v[251:252]
	v_add_f64 v[16:17], v[16:17], -v[225:226]
	v_add_f64 v[6:7], v[233:234], v[6:7]
	v_add_f64 v[14:15], v[217:218], v[14:15]
	v_add_f64 v[10:11], v[10:11], -v[190:191]
	s_waitcnt vmcnt(3)
	v_add_f64 v[176:177], v[176:177], v[2:3]
	v_fma_f64 v[2:3], v[20:21], s[16:17], v[229:230]
	v_fma_f64 v[20:21], v[20:21], s[16:17], -v[229:230]
	v_add_f64 v[2:3], v[2:3], v[64:65]
	v_add_f64 v[64:65], v[200:201], v[168:169]
	s_waitcnt vmcnt(0)
	v_add_f64 v[18:19], v[164:165], v[18:19]
	v_add_f64 v[164:165], v[156:157], v[176:177]
	;; [unrolled: 1-line block ×3, first 2 shown]
	v_fma_f64 v[200:201], v[253:254], s[14:15], -v[4:5]
	v_fma_f64 v[4:5], v[253:254], s[14:15], v[4:5]
	v_fma_f64 v[168:169], v[152:153], s[16:17], -v[160:161]
	v_fma_f64 v[152:153], v[152:153], s[16:17], v[160:161]
	v_add_f64 v[64:65], v[72:73], v[64:65]
	v_add_f64 v[72:73], v[82:83], v[154:155]
	;; [unrolled: 1-line block ×9, first 2 shown]
	buffer_load_dword v22, off, s[48:51], 0 offset:164 ; 4-byte Folded Reload
	buffer_load_dword v23, off, s[48:51], 0 offset:168 ; 4-byte Folded Reload
	v_add_f64 v[64:65], v[158:159], v[70:71]
	v_add_f64 v[70:71], v[158:159], v[215:216]
	;; [unrolled: 1-line block ×5, first 2 shown]
	v_add_f64 v[82:83], v[249:250], -v[174:175]
	v_mov_b32_e32 v218, v151
	v_mov_b32_e32 v217, v150
	;; [unrolled: 1-line block ×3, first 2 shown]
	v_add_f64 v[70:71], v[180:181], v[70:71]
	v_mov_b32_e32 v215, v148
	s_waitcnt vmcnt(0)
	v_add_f64 v[22:23], v[22:23], -v[78:79]
	v_add_f64 v[78:79], v[20:21], v[18:19]
	buffer_load_dword v20, off, s[48:51], 0 offset:284 ; 4-byte Folded Reload
	buffer_load_dword v21, off, s[48:51], 0 offset:288 ; 4-byte Folded Reload
	v_add_f64 v[18:19], v[231:232], -v[194:195]
	v_add_f64 v[22:23], v[22:23], v[64:65]
	buffer_load_dword v64, off, s[48:51], 0 offset:124 ; 4-byte Folded Reload
	buffer_load_dword v65, off, s[48:51], 0 offset:128 ; 4-byte Folded Reload
	v_add_f64 v[18:19], v[18:19], v[22:23]
	v_add_f64 v[18:19], v[82:83], v[18:19]
	;; [unrolled: 1-line block ×3, first 2 shown]
	s_waitcnt vmcnt(2)
	v_add_f64 v[20:21], v[20:21], v[126:127]
	s_waitcnt vmcnt(0)
	v_add_f64 v[64:65], v[64:65], -v[76:77]
	buffer_load_dword v76, off, s[48:51], 0 offset:276 ; 4-byte Folded Reload
	buffer_load_dword v77, off, s[48:51], 0 offset:280 ; 4-byte Folded Reload
	v_add_f64 v[20:21], v[156:157], v[20:21]
	v_add_f64 v[64:65], v[64:65], v[68:69]
	;; [unrolled: 1-line block ×3, first 2 shown]
	v_mov_b32_e32 v124, v144
	v_mov_b32_e32 v125, v145
	;; [unrolled: 1-line block ×4, first 2 shown]
	s_waitcnt vmcnt(0)
	v_add_f64 v[74:75], v[76:77], v[74:75]
	buffer_load_dword v76, off, s[48:51], 0 offset:140 ; 4-byte Folded Reload
	buffer_load_dword v77, off, s[48:51], 0 offset:144 ; 4-byte Folded Reload
	;; [unrolled: 1-line block ×12, first 2 shown]
	s_waitcnt vmcnt(8)
	v_add_f64 v[76:77], v[84:85], v[76:77]
	s_waitcnt vmcnt(6)
	v_add_f64 v[22:23], v[22:23], -v[221:222]
	s_waitcnt vmcnt(0)
	v_add_f64 v[70:71], v[70:71], v[74:75]
	buffer_load_dword v74, off, s[48:51], 0 offset:196 ; 4-byte Folded Reload
	buffer_load_dword v75, off, s[48:51], 0 offset:200 ; 4-byte Folded Reload
	v_add_f64 v[20:21], v[76:77], v[20:21]
	v_add_f64 v[76:77], v[243:244], -v[213:214]
	v_add_f64 v[22:23], v[22:23], v[64:65]
	v_add_f64 v[64:65], v[188:189], v[68:69]
	;; [unrolled: 1-line block ×6, first 2 shown]
	s_waitcnt vmcnt(0)
	v_add_f64 v[74:75], v[80:81], v[74:75]
	v_add_f64 v[20:21], v[74:75], v[20:21]
	buffer_load_dword v74, off, s[48:51], 0 offset:260 ; 4-byte Folded Reload
	buffer_load_dword v75, off, s[48:51], 0 offset:264 ; 4-byte Folded Reload
	buffer_load_dword v76, off, s[48:51], 0 offset:364 ; 4-byte Folded Reload
	buffer_load_dword v77, off, s[48:51], 0 offset:368 ; 4-byte Folded Reload
	s_waitcnt vmcnt(2)
	v_add_f64 v[74:75], v[219:220], -v[74:75]
	s_waitcnt vmcnt(0)
	v_add_f64 v[68:69], v[76:77], v[68:69]
	buffer_load_dword v76, off, s[48:51], 0 offset:236 ; 4-byte Folded Reload
	buffer_load_dword v77, off, s[48:51], 0 offset:240 ; 4-byte Folded Reload
	v_add_f64 v[74:75], v[158:159], v[74:75]
	s_waitcnt vmcnt(0)
	v_add_f64 v[76:77], v[76:77], v[66:67]
	buffer_load_dword v66, off, s[48:51], 0 offset:244 ; 4-byte Folded Reload
	buffer_load_dword v67, off, s[48:51], 0 offset:248 ; 4-byte Folded Reload
	;; [unrolled: 1-line block ×4, first 2 shown]
	v_add_f64 v[76:77], v[156:157], v[76:77]
	s_waitcnt vmcnt(0)
	v_add_f64 v[80:81], v[66:67], v[80:81]
	buffer_load_dword v66, off, s[48:51], 0 offset:324 ; 4-byte Folded Reload
	buffer_load_dword v67, off, s[48:51], 0 offset:328 ; 4-byte Folded Reload
	v_add_f64 v[80:81], v[156:157], v[80:81]
	s_waitcnt vmcnt(0)
	v_add_f64 v[82:83], v[66:67], v[196:197]
	buffer_load_dword v66, off, s[48:51], 0 offset:308 ; 4-byte Folded Reload
	buffer_load_dword v67, off, s[48:51], 0 offset:312 ; 4-byte Folded Reload
	buffer_load_dword v84, off, s[48:51], 0 offset:420 ; 4-byte Folded Reload
	buffer_load_dword v85, off, s[48:51], 0 offset:424 ; 4-byte Folded Reload
	v_add_f64 v[80:81], v[82:83], v[80:81]
	v_add_f64 v[82:83], v[192:193], v[241:242]
	s_waitcnt vmcnt(0)
	v_add_f64 v[84:85], v[84:85], -v[66:67]
	buffer_load_dword v66, off, s[48:51], 0 offset:252 ; 4-byte Folded Reload
	buffer_load_dword v67, off, s[48:51], 0 offset:256 ; 4-byte Folded Reload
	;; [unrolled: 1-line block ×4, first 2 shown]
	v_add_f64 v[74:75], v[84:85], v[74:75]
	s_waitcnt vmcnt(0)
	v_add_f64 v[158:159], v[66:67], v[148:149]
	buffer_load_dword v66, off, s[48:51], 0 offset:316 ; 4-byte Folded Reload
	buffer_load_dword v67, off, s[48:51], 0 offset:320 ; 4-byte Folded Reload
	v_add_f64 v[76:77], v[158:159], v[76:77]
	v_add_f64 v[158:159], v[239:240], -v[184:185]
	s_waitcnt vmcnt(0)
	v_add_f64 v[64:65], v[66:67], v[64:65]
	buffer_load_dword v66, off, s[48:51], 0 offset:340 ; 4-byte Folded Reload
	buffer_load_dword v67, off, s[48:51], 0 offset:344 ; 4-byte Folded Reload
	s_waitcnt vmcnt(0)
	v_add_f64 v[68:69], v[66:67], v[68:69]
	buffer_load_dword v66, off, s[48:51], 0 offset:172 ; 4-byte Folded Reload
	buffer_load_dword v67, off, s[48:51], 0 offset:176 ; 4-byte Folded Reload
	;; [unrolled: 1-line block ×4, first 2 shown]
	s_waitcnt vmcnt(0)
	v_add_f64 v[156:157], v[148:149], v[66:67]
	buffer_load_dword v66, off, s[48:51], 0 offset:156 ; 4-byte Folded Reload
	buffer_load_dword v67, off, s[48:51], 0 offset:160 ; 4-byte Folded Reload
	;; [unrolled: 1-line block ×4, first 2 shown]
	v_add_f64 v[80:81], v[156:157], v[80:81]
	v_add_f64 v[80:81], v[82:83], v[80:81]
	;; [unrolled: 1-line block ×8, first 2 shown]
	s_waitcnt vmcnt(0)
	v_add_f64 v[160:161], v[66:67], -v[148:149]
	buffer_load_dword v66, off, s[48:51], 0 offset:148 ; 4-byte Folded Reload
	buffer_load_dword v67, off, s[48:51], 0 offset:152 ; 4-byte Folded Reload
	;; [unrolled: 1-line block ×4, first 2 shown]
	v_add_f64 v[74:75], v[160:161], v[74:75]
	v_add_f64 v[74:75], v[158:159], v[74:75]
	s_waitcnt vmcnt(0)
	v_add_f64 v[84:85], v[84:85], v[66:67]
	buffer_load_dword v66, off, s[48:51], 0 offset:300 ; 4-byte Folded Reload
	buffer_load_dword v67, off, s[48:51], 0 offset:304 ; 4-byte Folded Reload
	v_add_f64 v[76:77], v[84:85], v[76:77]
	v_add_f64 v[84:85], v[235:236], v[86:87]
	s_waitcnt vmcnt(0)
	v_add_f64 v[64:65], v[66:67], v[64:65]
	buffer_load_dword v66, off, s[48:51], 0 offset:292 ; 4-byte Folded Reload
	buffer_load_dword v67, off, s[48:51], 0 offset:296 ; 4-byte Folded Reload
	s_waitcnt vmcnt(0)
	v_add_f64 v[68:69], v[66:67], v[68:69]
	buffer_load_dword v66, off, s[48:51], 0 offset:412 ; 4-byte Folded Reload
	buffer_load_dword v67, off, s[48:51], 0 offset:416 ; 4-byte Folded Reload
	;; [unrolled: 1-line block ×4, first 2 shown]
	s_waitcnt vmcnt(2)
	v_add_f64 v[66:67], v[66:67], v[237:238]
	s_waitcnt vmcnt(0)
	v_add_f64 v[64:65], v[148:149], v[64:65]
	buffer_load_dword v148, off, s[48:51], 0 offset:388 ; 4-byte Folded Reload
	buffer_load_dword v149, off, s[48:51], 0 offset:392 ; 4-byte Folded Reload
	;; [unrolled: 1-line block ×4, first 2 shown]
	v_add_f64 v[76:77], v[66:67], v[76:77]
	v_add_f64 v[66:67], v[0:1], v[74:75]
	s_waitcnt vmcnt(2)
	v_add_f64 v[68:69], v[148:149], v[68:69]
	s_waitcnt vmcnt(0)
	v_add_f64 v[64:65], v[86:87], v[64:65]
	buffer_load_dword v86, off, s[48:51], 0 offset:220 ; 4-byte Folded Reload
	buffer_load_dword v87, off, s[48:51], 0 offset:224 ; 4-byte Folded Reload
	;; [unrolled: 1-line block ×4, first 2 shown]
	s_waitcnt vmcnt(2)
	v_add_f64 v[68:69], v[86:87], v[68:69]
	s_waitcnt vmcnt(0)
	v_add_f64 v[70:71], v[0:1], v[64:65]
	buffer_load_dword v0, off, s[48:51], 0 offset:356 ; 4-byte Folded Reload
	buffer_load_dword v1, off, s[48:51], 0 offset:360 ; 4-byte Folded Reload
	;; [unrolled: 1-line block ×4, first 2 shown]
	v_add_f64 v[64:65], v[84:85], v[76:77]
	s_waitcnt vmcnt(2)
	v_add_f64 v[68:69], v[0:1], v[68:69]
	v_add_f64 v[0:1], v[168:169], v[154:155]
	s_waitcnt vmcnt(0)
	v_add_lshl_u32 v4, v5, v4, 4
	ds_write_b128 v4, v[68:71]
	ds_write_b128 v4, v[64:67] offset:48
	ds_write_b128 v4, v[18:21] offset:96
	;; [unrolled: 1-line block ×10, first 2 shown]
.LBB0_25:
	s_or_b64 exec, exec, s[38:39]
	s_waitcnt lgkmcnt(0)
	s_barrier
	ds_read_b128 v[64:67], v255
	ds_read_b128 v[152:155], v255 offset:4224
	ds_read_b128 v[84:87], v255 offset:8448
	;; [unrolled: 1-line block ×6, first 2 shown]
	s_and_saveexec_b64 s[2:3], s[4:5]
	s_cbranch_execz .LBB0_27
; %bb.26:
	ds_read_b128 v[48:51], v255 offset:3696
	ds_read_b128 v[60:63], v255 offset:7920
	;; [unrolled: 1-line block ×7, first 2 shown]
.LBB0_27:
	s_or_b64 exec, exec, s[2:3]
	s_waitcnt lgkmcnt(5)
	v_mul_f64 v[0:1], v[122:123], v[154:155]
	v_mul_f64 v[2:3], v[122:123], v[152:153]
	s_waitcnt lgkmcnt(4)
	v_mul_f64 v[4:5], v[118:119], v[86:87]
	v_mul_f64 v[6:7], v[118:119], v[84:85]
	;; [unrolled: 3-line block ×3, first 2 shown]
	v_mul_f64 v[16:17], v[106:107], v[78:79]
	v_mul_f64 v[18:19], v[106:107], v[76:77]
	v_fma_f64 v[0:1], v[120:121], v[152:153], v[0:1]
	v_fma_f64 v[2:3], v[120:121], v[154:155], -v[2:3]
	v_fma_f64 v[4:5], v[116:117], v[84:85], v[4:5]
	v_fma_f64 v[6:7], v[116:117], v[86:87], -v[6:7]
	v_mul_f64 v[12:13], v[102:103], v[74:75]
	v_mul_f64 v[14:15], v[102:103], v[72:73]
	;; [unrolled: 1-line block ×4, first 2 shown]
	v_fma_f64 v[8:9], v[112:113], v[80:81], v[8:9]
	v_fma_f64 v[10:11], v[112:113], v[82:83], -v[10:11]
	v_fma_f64 v[16:17], v[104:105], v[76:77], v[16:17]
	v_fma_f64 v[18:19], v[104:105], v[78:79], -v[18:19]
	;; [unrolled: 2-line block ×4, first 2 shown]
	v_add_f64 v[68:69], v[0:1], v[8:9]
	v_add_f64 v[70:71], v[2:3], v[10:11]
	v_add_f64 v[0:1], v[0:1], -v[8:9]
	v_add_f64 v[2:3], v[2:3], -v[10:11]
	v_add_f64 v[8:9], v[4:5], v[16:17]
	v_add_f64 v[10:11], v[6:7], v[18:19]
	v_add_f64 v[4:5], v[4:5], -v[16:17]
	v_add_f64 v[6:7], v[6:7], -v[18:19]
	;; [unrolled: 4-line block ×4, first 2 shown]
	v_add_f64 v[68:69], v[68:69], -v[16:17]
	v_add_f64 v[70:71], v[70:71], -v[18:19]
	;; [unrolled: 1-line block ×4, first 2 shown]
	v_add_f64 v[76:77], v[12:13], v[4:5]
	v_add_f64 v[78:79], v[14:15], v[6:7]
	v_add_f64 v[80:81], v[12:13], -v[4:5]
	v_add_f64 v[82:83], v[14:15], -v[6:7]
	v_add_f64 v[16:17], v[16:17], v[20:21]
	v_add_f64 v[18:19], v[18:19], v[22:23]
	v_add_f64 v[4:5], v[4:5], -v[0:1]
	v_add_f64 v[6:7], v[6:7], -v[2:3]
	s_mov_b32 s16, 0x37e14327
	s_mov_b32 s6, 0x36b3c0b5
	;; [unrolled: 1-line block ×7, first 2 shown]
	v_add_f64 v[12:13], v[0:1], -v[12:13]
	v_add_f64 v[14:15], v[2:3], -v[14:15]
	v_add_f64 v[20:21], v[76:77], v[0:1]
	v_add_f64 v[22:23], v[78:79], v[2:3]
	;; [unrolled: 1-line block ×4, first 2 shown]
	v_mul_f64 v[64:65], v[68:69], s[16:17]
	v_mul_f64 v[66:67], v[70:71], s[16:17]
	v_mul_f64 v[68:69], v[8:9], s[6:7]
	v_mul_f64 v[70:71], v[10:11], s[6:7]
	v_mul_f64 v[76:77], v[80:81], s[18:19]
	v_mul_f64 v[78:79], v[82:83], s[18:19]
	s_mov_b32 s3, 0xbfebfeb5
	v_mul_f64 v[80:81], v[4:5], s[2:3]
	v_mul_f64 v[82:83], v[6:7], s[2:3]
	s_mov_b32 s26, 0xaaaaaaaa
	s_mov_b32 s14, 0x5476071b
	;; [unrolled: 1-line block ×8, first 2 shown]
	v_fma_f64 v[16:17], v[16:17], s[26:27], v[0:1]
	v_fma_f64 v[18:19], v[18:19], s[26:27], v[2:3]
	;; [unrolled: 1-line block ×4, first 2 shown]
	v_fma_f64 v[68:69], v[72:73], s[14:15], -v[68:69]
	v_fma_f64 v[70:71], v[74:75], s[14:15], -v[70:71]
	;; [unrolled: 1-line block ×4, first 2 shown]
	v_fma_f64 v[72:73], v[12:13], s[28:29], v[76:77]
	v_fma_f64 v[74:75], v[14:15], s[28:29], v[78:79]
	s_mov_b32 s25, 0x3fd5d0dc
	s_mov_b32 s24, s28
	v_fma_f64 v[12:13], v[12:13], s[24:25], -v[80:81]
	v_fma_f64 v[14:15], v[14:15], s[24:25], -v[82:83]
	;; [unrolled: 1-line block ×4, first 2 shown]
	s_mov_b32 s22, 0x37c3f68c
	s_mov_b32 s23, 0xbfdc38aa
	v_add_f64 v[76:77], v[8:9], v[16:17]
	v_add_f64 v[78:79], v[10:11], v[18:19]
	v_fma_f64 v[74:75], v[22:23], s[22:23], v[74:75]
	v_fma_f64 v[72:73], v[20:21], s[22:23], v[72:73]
	v_add_f64 v[64:65], v[64:65], v[16:17]
	v_add_f64 v[66:67], v[66:67], v[18:19]
	v_fma_f64 v[80:81], v[22:23], s[22:23], v[14:15]
	v_fma_f64 v[82:83], v[20:21], s[22:23], v[12:13]
	;; [unrolled: 4-line block ×3, first 2 shown]
	v_add_f64 v[4:5], v[74:75], v[76:77]
	v_add_f64 v[6:7], v[78:79], -v[72:73]
	v_add_f64 v[8:9], v[80:81], v[64:65]
	v_add_f64 v[10:11], v[66:67], -v[82:83]
	v_add_f64 v[20:21], v[64:65], -v[80:81]
	v_add_f64 v[22:23], v[82:83], v[66:67]
	v_add_f64 v[12:13], v[68:69], -v[16:17]
	v_add_f64 v[14:15], v[18:19], v[70:71]
	v_add_f64 v[16:17], v[16:17], v[68:69]
	v_add_f64 v[18:19], v[70:71], -v[18:19]
	v_add_f64 v[64:65], v[76:77], -v[74:75]
	v_add_f64 v[66:67], v[72:73], v[78:79]
	s_barrier
	ds_write_b128 v203, v[0:3]
	ds_write_b128 v203, v[4:7] offset:528
	ds_write_b128 v203, v[8:11] offset:1056
	;; [unrolled: 1-line block ×6, first 2 shown]
	s_and_saveexec_b64 s[30:31], s[4:5]
	s_cbranch_execz .LBB0_29
; %bb.28:
	v_mul_f64 v[0:1], v[30:31], v[126:127]
	v_mul_f64 v[2:3], v[38:39], v[54:55]
	;; [unrolled: 1-line block ×10, first 2 shown]
	v_fma_f64 v[0:1], v[28:29], v[124:125], v[0:1]
	v_fma_f64 v[2:3], v[36:37], v[52:53], v[2:3]
	v_fma_f64 v[8:9], v[40:41], v[146:147], -v[8:9]
	v_fma_f64 v[10:11], v[32:33], v[62:63], -v[10:11]
	v_mul_f64 v[20:21], v[38:39], v[52:53]
	v_mul_f64 v[22:23], v[30:31], v[124:125]
	v_fma_f64 v[12:13], v[44:45], v[217:218], -v[12:13]
	v_fma_f64 v[14:15], v[24:25], v[58:59], -v[14:15]
	v_fma_f64 v[16:17], v[24:25], v[56:57], v[16:17]
	v_fma_f64 v[18:19], v[44:45], v[215:216], v[18:19]
	;; [unrolled: 1-line block ×4, first 2 shown]
	v_fma_f64 v[20:21], v[36:37], v[54:55], -v[20:21]
	v_fma_f64 v[22:23], v[28:29], v[126:127], -v[22:23]
	v_add_f64 v[24:25], v[10:11], v[8:9]
	v_add_f64 v[26:27], v[14:15], v[12:13]
	v_add_f64 v[28:29], v[0:1], -v[2:3]
	v_add_f64 v[30:31], v[16:17], -v[18:19]
	v_add_f64 v[16:17], v[16:17], v[18:19]
	v_add_f64 v[36:37], v[4:5], -v[6:7]
	v_add_f64 v[4:5], v[4:5], v[6:7]
	v_add_f64 v[32:33], v[20:21], v[22:23]
	v_add_f64 v[42:43], v[2:3], v[0:1]
	v_add_f64 v[34:35], v[26:27], v[24:25]
	v_add_f64 v[20:21], v[22:23], -v[20:21]
	v_add_f64 v[38:39], v[28:29], -v[30:31]
	;; [unrolled: 1-line block ×4, first 2 shown]
	v_add_f64 v[40:41], v[16:17], v[4:5]
	v_add_f64 v[6:7], v[24:25], -v[32:33]
	v_add_f64 v[10:11], v[4:5], -v[42:43]
	v_add_f64 v[18:19], v[32:33], v[34:35]
	v_add_f64 v[34:35], v[36:37], -v[28:29]
	v_mul_f64 v[38:39], v[38:39], s[18:19]
	v_add_f64 v[28:29], v[28:29], v[30:31]
	v_add_f64 v[14:15], v[30:31], -v[36:37]
	v_add_f64 v[22:23], v[42:43], -v[16:17]
	v_mul_f64 v[44:45], v[6:7], s[16:17]
	v_add_f64 v[6:7], v[32:33], -v[26:27]
	v_add_f64 v[2:3], v[50:51], v[18:19]
	v_add_f64 v[32:33], v[42:43], v[40:41]
	v_fma_f64 v[40:41], v[34:35], s[28:29], v[38:39]
	v_add_f64 v[28:29], v[28:29], v[36:37]
	v_add_f64 v[24:25], v[26:27], -v[24:25]
	v_mul_f64 v[10:11], v[10:11], s[16:17]
	v_mul_f64 v[42:43], v[14:15], s[2:3]
	v_fma_f64 v[46:47], v[6:7], s[6:7], v[44:45]
	v_fma_f64 v[18:19], v[18:19], s[26:27], v[2:3]
	v_add_f64 v[0:1], v[48:49], v[32:33]
	v_add_f64 v[48:49], v[12:13], -v[8:9]
	v_fma_f64 v[30:31], v[28:29], s[22:23], v[40:41]
	v_add_f64 v[40:41], v[20:21], -v[12:13]
	v_mul_f64 v[26:27], v[6:7], s[6:7]
	v_add_f64 v[12:13], v[20:21], v[12:13]
	v_add_f64 v[4:5], v[16:17], -v[4:5]
	v_add_f64 v[36:37], v[46:47], v[18:19]
	v_add_f64 v[46:47], v[8:9], -v[20:21]
	v_mul_f64 v[20:21], v[22:23], s[6:7]
	v_mul_f64 v[16:17], v[48:49], s[2:3]
	v_mul_f64 v[40:41], v[40:41], s[18:19]
	v_fma_f64 v[32:33], v[32:33], s[26:27], v[0:1]
	v_fma_f64 v[22:23], v[22:23], s[6:7], v[10:11]
	v_fma_f64 v[34:35], v[34:35], s[24:25], -v[42:43]
	v_fma_f64 v[42:43], v[24:25], s[20:21], -v[44:45]
	v_add_f64 v[8:9], v[12:13], v[8:9]
	v_fma_f64 v[12:13], v[24:25], s[14:15], -v[26:27]
	v_fma_f64 v[14:15], v[14:15], s[2:3], -v[38:39]
	v_fma_f64 v[44:45], v[46:47], s[28:29], v[40:41]
	v_fma_f64 v[10:11], v[4:5], s[20:21], -v[10:11]
	v_fma_f64 v[16:17], v[46:47], s[24:25], -v[16:17]
	;; [unrolled: 1-line block ×4, first 2 shown]
	v_fma_f64 v[24:25], v[28:29], s[22:23], v[34:35]
	v_add_f64 v[26:27], v[42:43], v[18:19]
	v_add_f64 v[12:13], v[12:13], v[18:19]
	v_fma_f64 v[18:19], v[28:29], s[22:23], v[14:15]
	v_add_f64 v[28:29], v[22:23], v[32:33]
	v_fma_f64 v[34:35], v[8:9], s[22:23], v[44:45]
	v_fma_f64 v[40:41], v[8:9], s[22:23], v[16:17]
	v_add_f64 v[4:5], v[4:5], v[32:33]
	v_fma_f64 v[8:9], v[8:9], s[22:23], v[20:21]
	v_add_f64 v[38:39], v[10:11], v[32:33]
	v_add_f64 v[10:11], v[24:25], v[26:27]
	v_add_f64 v[14:15], v[12:13], -v[18:19]
	v_add_f64 v[18:19], v[18:19], v[12:13]
	v_add_f64 v[22:23], v[26:27], -v[24:25]
	;; [unrolled: 2-line block ×3, first 2 shown]
	v_add_f64 v[16:17], v[4:5], -v[8:9]
	v_add_f64 v[12:13], v[8:9], v[4:5]
	v_add_f64 v[4:5], v[28:29], -v[34:35]
	buffer_load_dword v28, off, s[48:51], 0 offset:120 ; 4-byte Folded Reload
	v_add_f64 v[20:21], v[40:41], v[38:39]
	v_add_f64 v[8:9], v[38:39], -v[40:41]
	v_add_f64 v[6:7], v[30:31], v[36:37]
	s_waitcnt vmcnt(0)
	ds_write_b128 v28, v[0:3] offset:25872
	ds_write_b128 v28, v[24:27] offset:26400
	;; [unrolled: 1-line block ×7, first 2 shown]
.LBB0_29:
	s_or_b64 exec, exec, s[30:31]
	s_waitcnt lgkmcnt(0)
	s_barrier
	ds_read_b128 v[0:3], v255 offset:7392
	ds_read_b128 v[4:7], v255 offset:14784
	ds_read_b128 v[8:11], v255 offset:11088
	ds_read_b128 v[12:15], v255 offset:18480
	ds_read_b128 v[16:19], v255
	ds_read_b128 v[20:23], v255 offset:3696
	ds_read_b128 v[24:27], v255 offset:22176
	;; [unrolled: 1-line block ×3, first 2 shown]
	s_waitcnt lgkmcnt(7)
	v_mul_f64 v[32:33], v[110:111], v[2:3]
	v_mul_f64 v[34:35], v[110:111], v[0:1]
	s_waitcnt lgkmcnt(6)
	v_mul_f64 v[36:37], v[98:99], v[6:7]
	v_mul_f64 v[38:39], v[98:99], v[4:5]
	;; [unrolled: 3-line block ×4, first 2 shown]
	v_fma_f64 v[0:1], v[108:109], v[0:1], v[32:33]
	v_fma_f64 v[2:3], v[108:109], v[2:3], -v[34:35]
	v_mul_f64 v[32:33], v[94:95], v[26:27]
	v_mul_f64 v[34:35], v[94:95], v[24:25]
	v_fma_f64 v[4:5], v[96:97], v[4:5], v[36:37]
	v_fma_f64 v[6:7], v[96:97], v[6:7], -v[38:39]
	v_mul_f64 v[36:37], v[110:111], v[10:11]
	v_mul_f64 v[38:39], v[110:111], v[8:9]
	v_fma_f64 v[12:13], v[96:97], v[12:13], v[40:41]
	v_fma_f64 v[14:15], v[96:97], v[14:15], -v[42:43]
	v_fma_f64 v[24:25], v[92:93], v[24:25], v[32:33]
	v_fma_f64 v[26:27], v[92:93], v[26:27], -v[34:35]
	;; [unrolled: 2-line block ×4, first 2 shown]
	v_add_f64 v[32:33], v[16:17], -v[4:5]
	v_add_f64 v[34:35], v[18:19], -v[6:7]
	;; [unrolled: 1-line block ×8, first 2 shown]
	v_fma_f64 v[16:17], v[16:17], 2.0, -v[32:33]
	v_fma_f64 v[18:19], v[18:19], 2.0, -v[34:35]
	;; [unrolled: 1-line block ×8, first 2 shown]
	v_add_f64 v[4:5], v[32:33], v[4:5]
	v_add_f64 v[6:7], v[34:35], -v[6:7]
	v_add_f64 v[0:1], v[16:17], -v[0:1]
	;; [unrolled: 1-line block ×3, first 2 shown]
	v_add_f64 v[12:13], v[36:37], v[12:13]
	v_add_f64 v[14:15], v[38:39], -v[14:15]
	v_add_f64 v[8:9], v[24:25], -v[8:9]
	;; [unrolled: 1-line block ×3, first 2 shown]
	v_fma_f64 v[20:21], v[32:33], 2.0, -v[4:5]
	v_fma_f64 v[22:23], v[34:35], 2.0, -v[6:7]
	;; [unrolled: 1-line block ×8, first 2 shown]
	s_barrier
	ds_write_b128 v255, v[16:19]
	ds_write_b128 v255, v[20:23] offset:3696
	ds_write_b128 v255, v[0:3] offset:7392
	;; [unrolled: 1-line block ×7, first 2 shown]
	s_waitcnt lgkmcnt(0)
	s_barrier
	ds_read_b128 v[0:3], v255
	ds_read_b128 v[4:7], v255 offset:3696
	ds_read_b128 v[8:11], v255 offset:14784
	;; [unrolled: 1-line block ×7, first 2 shown]
	s_waitcnt lgkmcnt(5)
	v_mul_f64 v[32:33], v[138:139], v[10:11]
	v_mul_f64 v[34:35], v[138:139], v[8:9]
	s_waitcnt lgkmcnt(4)
	v_mul_f64 v[36:37], v[134:135], v[14:15]
	v_mul_f64 v[38:39], v[134:135], v[12:13]
	;; [unrolled: 3-line block ×4, first 2 shown]
	v_fma_f64 v[8:9], v[136:137], v[8:9], v[32:33]
	v_fma_f64 v[10:11], v[136:137], v[10:11], -v[34:35]
	v_fma_f64 v[12:13], v[132:133], v[12:13], v[36:37]
	v_fma_f64 v[14:15], v[132:133], v[14:15], -v[38:39]
	;; [unrolled: 2-line block ×4, first 2 shown]
	v_add_f64 v[8:9], v[0:1], -v[8:9]
	v_add_f64 v[10:11], v[2:3], -v[10:11]
	;; [unrolled: 1-line block ×8, first 2 shown]
	v_fma_f64 v[0:1], v[0:1], 2.0, -v[8:9]
	v_fma_f64 v[2:3], v[2:3], 2.0, -v[10:11]
	;; [unrolled: 1-line block ×8, first 2 shown]
	buffer_load_dword v32, off, s[48:51], 0 offset:8 ; 4-byte Folded Reload
	buffer_load_dword v33, off, s[48:51], 0 offset:12 ; 4-byte Folded Reload
	ds_write_b128 v255, v[0:3]
	ds_write_b128 v255, v[8:11] offset:14784
	ds_write_b128 v255, v[4:7] offset:3696
	;; [unrolled: 1-line block ×7, first 2 shown]
	s_waitcnt vmcnt(0) lgkmcnt(0)
	s_barrier
	ds_read_b128 v[0:3], v255
	ds_read_b128 v[4:7], v255 offset:3696
	buffer_load_dword v14, off, s[48:51], 0 offset:96 ; 4-byte Folded Reload
	buffer_load_dword v15, off, s[48:51], 0 offset:100 ; 4-byte Folded Reload
	;; [unrolled: 1-line block ×4, first 2 shown]
	v_mov_b32_e32 v24, s13
	s_mul_hi_u32 s7, s8, 0xfffffc17
	s_mul_i32 s6, s9, 0xfffffc17
	s_sub_i32 s7, s7, s8
	s_add_i32 s7, s7, s6
	s_mul_i32 s6, s8, 0xfffffc17
	s_lshl_b64 s[6:7], s[6:7], 4
	v_mov_b32_e32 v34, v32
	v_mad_u64_u32 v[32:33], s[2:3], s10, v34, 0
	v_mov_b32_e32 v8, v33
	s_waitcnt vmcnt(0) lgkmcnt(1)
	v_mul_f64 v[9:10], v[16:17], v[2:3]
	v_mad_u64_u32 v[11:12], s[2:3], s11, v34, v[8:9]
	v_mul_f64 v[12:13], v[16:17], v[0:1]
	v_mad_u64_u32 v[16:17], s[2:3], s8, v204, 0
	v_mov_b32_e32 v33, v11
	v_fma_f64 v[0:1], v[14:15], v[0:1], v[9:10]
	v_mov_b32_e32 v8, v17
	s_mov_b32 s2, 0x4046ed29
	v_lshlrev_b64 v[18:19], 4, v[32:33]
	v_fma_f64 v[2:3], v[14:15], v[2:3], -v[12:13]
	v_mad_u64_u32 v[12:13], s[4:5], s9, v204, v[8:9]
	ds_read_b128 v[8:11], v255 offset:9856
	s_mov_b32 s3, 0x3f41bb4a
	v_mov_b32_e32 v17, v12
	ds_read_b128 v[12:15], v255 offset:13552
	buffer_load_dword v26, off, s[48:51], 0 offset:16 ; 4-byte Folded Reload
	buffer_load_dword v27, off, s[48:51], 0 offset:20 ; 4-byte Folded Reload
	;; [unrolled: 1-line block ×4, first 2 shown]
	v_mul_f64 v[0:1], v[0:1], s[2:3]
	v_mul_f64 v[2:3], v[2:3], s[2:3]
	v_add_co_u32_e32 v25, vcc, s12, v18
	v_addc_co_u32_e32 v24, vcc, v24, v19, vcc
	v_lshlrev_b64 v[16:17], 4, v[16:17]
	s_mul_i32 s4, s9, 0x268
	s_mul_hi_u32 s5, s8, 0x268
	s_add_i32 s5, s5, s4
	s_mul_i32 s4, s8, 0x268
	s_lshl_b64 s[4:5], s[4:5], 4
	s_waitcnt vmcnt(0) lgkmcnt(1)
	v_mul_f64 v[20:21], v[28:29], v[10:11]
	v_mul_f64 v[22:23], v[28:29], v[8:9]
	v_fma_f64 v[18:19], v[26:27], v[8:9], v[20:21]
	v_fma_f64 v[20:21], v[26:27], v[10:11], -v[22:23]
	v_add_co_u32_e32 v22, vcc, v25, v16
	v_addc_co_u32_e32 v23, vcc, v24, v17, vcc
	global_store_dwordx4 v[22:23], v[0:3], off
	ds_read_b128 v[8:11], v255 offset:19712
	v_mul_f64 v[0:1], v[18:19], s[2:3]
	ds_read_b128 v[16:19], v255 offset:23408
	buffer_load_dword v27, off, s[48:51], 0 offset:32 ; 4-byte Folded Reload
	buffer_load_dword v28, off, s[48:51], 0 offset:36 ; 4-byte Folded Reload
	;; [unrolled: 1-line block ×4, first 2 shown]
	v_mul_f64 v[2:3], v[20:21], s[2:3]
	v_mov_b32_e32 v26, s5
	v_add_co_u32_e32 v22, vcc, s4, v22
	v_addc_co_u32_e32 v23, vcc, v23, v26, vcc
	s_waitcnt vmcnt(0) lgkmcnt(1)
	v_mul_f64 v[20:21], v[29:30], v[10:11]
	v_mul_f64 v[24:25], v[29:30], v[8:9]
	v_fma_f64 v[8:9], v[27:28], v[8:9], v[20:21]
	v_fma_f64 v[10:11], v[27:28], v[10:11], -v[24:25]
	buffer_load_dword v27, off, s[48:51], 0 offset:48 ; 4-byte Folded Reload
	buffer_load_dword v28, off, s[48:51], 0 offset:52 ; 4-byte Folded Reload
	;; [unrolled: 1-line block ×4, first 2 shown]
	v_mul_f64 v[8:9], v[8:9], s[2:3]
	v_mul_f64 v[10:11], v[10:11], s[2:3]
	global_store_dwordx4 v[22:23], v[0:3], off
	s_waitcnt vmcnt(1)
	v_mul_f64 v[20:21], v[29:30], v[6:7]
	v_mul_f64 v[24:25], v[29:30], v[4:5]
	v_fma_f64 v[4:5], v[27:28], v[4:5], v[20:21]
	v_add_co_u32_e32 v20, vcc, s4, v22
	v_addc_co_u32_e32 v21, vcc, v23, v26, vcc
	global_store_dwordx4 v[20:21], v[8:11], off
	v_fma_f64 v[6:7], v[27:28], v[6:7], -v[24:25]
	buffer_load_dword v27, off, s[48:51], 0 offset:64 ; 4-byte Folded Reload
	buffer_load_dword v28, off, s[48:51], 0 offset:68 ; 4-byte Folded Reload
	buffer_load_dword v29, off, s[48:51], 0 offset:72 ; 4-byte Folded Reload
	buffer_load_dword v30, off, s[48:51], 0 offset:76 ; 4-byte Folded Reload
	v_mul_f64 v[0:1], v[4:5], s[2:3]
	v_mov_b32_e32 v22, s7
	v_mul_f64 v[2:3], v[6:7], s[2:3]
	s_waitcnt vmcnt(0)
	v_mul_f64 v[4:5], v[29:30], v[14:15]
	v_mul_f64 v[6:7], v[29:30], v[12:13]
	buffer_load_dword v29, off, s[48:51], 0 offset:80 ; 4-byte Folded Reload
	buffer_load_dword v30, off, s[48:51], 0 offset:84 ; 4-byte Folded Reload
	;; [unrolled: 1-line block ×4, first 2 shown]
	v_fma_f64 v[4:5], v[27:28], v[12:13], v[4:5]
	v_fma_f64 v[6:7], v[27:28], v[14:15], -v[6:7]
	v_add_co_u32_e32 v12, vcc, s6, v20
	v_addc_co_u32_e32 v13, vcc, v21, v22, vcc
	global_store_dwordx4 v[12:13], v[0:3], off
	v_mul_f64 v[4:5], v[4:5], s[2:3]
	v_mul_f64 v[6:7], v[6:7], s[2:3]
	v_add_co_u32_e32 v0, vcc, s4, v12
	v_addc_co_u32_e32 v1, vcc, v13, v26, vcc
	global_store_dwordx4 v[0:1], v[4:7], off
	v_add_co_u32_e32 v0, vcc, s4, v0
	v_addc_co_u32_e32 v1, vcc, v1, v26, vcc
	s_waitcnt vmcnt(2) lgkmcnt(0)
	v_mul_f64 v[8:9], v[31:32], v[18:19]
	v_mul_f64 v[10:11], v[31:32], v[16:17]
	v_fma_f64 v[8:9], v[29:30], v[16:17], v[8:9]
	v_fma_f64 v[10:11], v[29:30], v[18:19], -v[10:11]
	v_mul_f64 v[8:9], v[8:9], s[2:3]
	v_mul_f64 v[10:11], v[10:11], s[2:3]
	global_store_dwordx4 v[0:1], v[8:11], off
	s_and_b64 exec, exec, s[0:1]
	s_cbranch_execz .LBB0_31
; %bb.30:
	buffer_load_dword v14, off, s[48:51], 0 offset:4 ; 4-byte Folded Reload
	v_add_co_u32_e32 v10, vcc, 0x1000, v202
	s_movk_i32 s0, 0x4000
	v_mov_b32_e32 v32, s7
	v_mov_b32_e32 v33, s5
	s_waitcnt vmcnt(0)
	v_addc_co_u32_e32 v11, vcc, 0, v14, vcc
	v_add_co_u32_e32 v12, vcc, s0, v202
	v_addc_co_u32_e32 v13, vcc, 0, v14, vcc
	s_movk_i32 s0, 0x6000
	global_load_dwordx4 v[2:5], v[10:11], off offset:3296
	global_load_dwordx4 v[6:9], v[12:13], off offset:864
	v_add_co_u32_e32 v10, vcc, s0, v202
	v_addc_co_u32_e32 v11, vcc, 0, v14, vcc
	global_load_dwordx4 v[10:13], v[10:11], off offset:2528
	ds_read_b128 v[14:17], v255 offset:7392
	ds_read_b128 v[18:21], v255 offset:17248
	;; [unrolled: 1-line block ×3, first 2 shown]
	s_waitcnt vmcnt(2) lgkmcnt(2)
	v_mul_f64 v[26:27], v[16:17], v[4:5]
	v_mul_f64 v[4:5], v[14:15], v[4:5]
	s_waitcnt vmcnt(1) lgkmcnt(1)
	v_mul_f64 v[28:29], v[20:21], v[8:9]
	v_mul_f64 v[8:9], v[18:19], v[8:9]
	;; [unrolled: 3-line block ×3, first 2 shown]
	v_fma_f64 v[14:15], v[14:15], v[2:3], v[26:27]
	v_fma_f64 v[2:3], v[2:3], v[16:17], -v[4:5]
	v_fma_f64 v[4:5], v[18:19], v[6:7], v[28:29]
	v_fma_f64 v[6:7], v[6:7], v[20:21], -v[8:9]
	;; [unrolled: 2-line block ×3, first 2 shown]
	v_add_co_u32_e32 v12, vcc, s6, v0
	v_addc_co_u32_e32 v13, vcc, v1, v32, vcc
	v_mul_f64 v[0:1], v[14:15], s[2:3]
	v_mul_f64 v[2:3], v[2:3], s[2:3]
	v_mul_f64 v[4:5], v[4:5], s[2:3]
	v_mul_f64 v[6:7], v[6:7], s[2:3]
	v_mul_f64 v[8:9], v[8:9], s[2:3]
	v_mul_f64 v[10:11], v[10:11], s[2:3]
	v_add_co_u32_e32 v14, vcc, s4, v12
	v_addc_co_u32_e32 v15, vcc, v13, v33, vcc
	v_add_co_u32_e32 v16, vcc, s4, v14
	v_addc_co_u32_e32 v17, vcc, v15, v33, vcc
	global_store_dwordx4 v[12:13], v[0:3], off
	global_store_dwordx4 v[14:15], v[4:7], off
	global_store_dwordx4 v[16:17], v[8:11], off
.LBB0_31:
	s_endpgm
	.section	.rodata,"a",@progbits
	.p2align	6, 0x0
	.amdhsa_kernel bluestein_single_fwd_len1848_dim1_dp_op_CI_CI
		.amdhsa_group_segment_fixed_size 29568
		.amdhsa_private_segment_fixed_size 448
		.amdhsa_kernarg_size 104
		.amdhsa_user_sgpr_count 6
		.amdhsa_user_sgpr_private_segment_buffer 1
		.amdhsa_user_sgpr_dispatch_ptr 0
		.amdhsa_user_sgpr_queue_ptr 0
		.amdhsa_user_sgpr_kernarg_segment_ptr 1
		.amdhsa_user_sgpr_dispatch_id 0
		.amdhsa_user_sgpr_flat_scratch_init 0
		.amdhsa_user_sgpr_private_segment_size 0
		.amdhsa_uses_dynamic_stack 0
		.amdhsa_system_sgpr_private_segment_wavefront_offset 1
		.amdhsa_system_sgpr_workgroup_id_x 1
		.amdhsa_system_sgpr_workgroup_id_y 0
		.amdhsa_system_sgpr_workgroup_id_z 0
		.amdhsa_system_sgpr_workgroup_info 0
		.amdhsa_system_vgpr_workitem_id 0
		.amdhsa_next_free_vgpr 256
		.amdhsa_next_free_sgpr 52
		.amdhsa_reserve_vcc 1
		.amdhsa_reserve_flat_scratch 0
		.amdhsa_float_round_mode_32 0
		.amdhsa_float_round_mode_16_64 0
		.amdhsa_float_denorm_mode_32 3
		.amdhsa_float_denorm_mode_16_64 3
		.amdhsa_dx10_clamp 1
		.amdhsa_ieee_mode 1
		.amdhsa_fp16_overflow 0
		.amdhsa_exception_fp_ieee_invalid_op 0
		.amdhsa_exception_fp_denorm_src 0
		.amdhsa_exception_fp_ieee_div_zero 0
		.amdhsa_exception_fp_ieee_overflow 0
		.amdhsa_exception_fp_ieee_underflow 0
		.amdhsa_exception_fp_ieee_inexact 0
		.amdhsa_exception_int_div_zero 0
	.end_amdhsa_kernel
	.text
.Lfunc_end0:
	.size	bluestein_single_fwd_len1848_dim1_dp_op_CI_CI, .Lfunc_end0-bluestein_single_fwd_len1848_dim1_dp_op_CI_CI
                                        ; -- End function
	.section	.AMDGPU.csdata,"",@progbits
; Kernel info:
; codeLenInByte = 20312
; NumSgprs: 56
; NumVgprs: 256
; ScratchSize: 448
; MemoryBound: 0
; FloatMode: 240
; IeeeMode: 1
; LDSByteSize: 29568 bytes/workgroup (compile time only)
; SGPRBlocks: 6
; VGPRBlocks: 63
; NumSGPRsForWavesPerEU: 56
; NumVGPRsForWavesPerEU: 256
; Occupancy: 1
; WaveLimiterHint : 1
; COMPUTE_PGM_RSRC2:SCRATCH_EN: 1
; COMPUTE_PGM_RSRC2:USER_SGPR: 6
; COMPUTE_PGM_RSRC2:TRAP_HANDLER: 0
; COMPUTE_PGM_RSRC2:TGID_X_EN: 1
; COMPUTE_PGM_RSRC2:TGID_Y_EN: 0
; COMPUTE_PGM_RSRC2:TGID_Z_EN: 0
; COMPUTE_PGM_RSRC2:TIDIG_COMP_CNT: 0
	.type	__hip_cuid_c2633385ab91f3b2,@object ; @__hip_cuid_c2633385ab91f3b2
	.section	.bss,"aw",@nobits
	.globl	__hip_cuid_c2633385ab91f3b2
__hip_cuid_c2633385ab91f3b2:
	.byte	0                               ; 0x0
	.size	__hip_cuid_c2633385ab91f3b2, 1

	.ident	"AMD clang version 19.0.0git (https://github.com/RadeonOpenCompute/llvm-project roc-6.4.0 25133 c7fe45cf4b819c5991fe208aaa96edf142730f1d)"
	.section	".note.GNU-stack","",@progbits
	.addrsig
	.addrsig_sym __hip_cuid_c2633385ab91f3b2
	.amdgpu_metadata
---
amdhsa.kernels:
  - .args:
      - .actual_access:  read_only
        .address_space:  global
        .offset:         0
        .size:           8
        .value_kind:     global_buffer
      - .actual_access:  read_only
        .address_space:  global
        .offset:         8
        .size:           8
        .value_kind:     global_buffer
      - .actual_access:  read_only
        .address_space:  global
        .offset:         16
        .size:           8
        .value_kind:     global_buffer
      - .actual_access:  read_only
        .address_space:  global
        .offset:         24
        .size:           8
        .value_kind:     global_buffer
      - .actual_access:  read_only
        .address_space:  global
        .offset:         32
        .size:           8
        .value_kind:     global_buffer
      - .offset:         40
        .size:           8
        .value_kind:     by_value
      - .address_space:  global
        .offset:         48
        .size:           8
        .value_kind:     global_buffer
      - .address_space:  global
        .offset:         56
        .size:           8
        .value_kind:     global_buffer
      - .address_space:  global
        .offset:         64
        .size:           8
        .value_kind:     global_buffer
      - .address_space:  global
        .offset:         72
        .size:           8
        .value_kind:     global_buffer
      - .offset:         80
        .size:           4
        .value_kind:     by_value
      - .address_space:  global
        .offset:         88
        .size:           8
        .value_kind:     global_buffer
      - .address_space:  global
        .offset:         96
        .size:           8
        .value_kind:     global_buffer
    .group_segment_fixed_size: 29568
    .kernarg_segment_align: 8
    .kernarg_segment_size: 104
    .language:       OpenCL C
    .language_version:
      - 2
      - 0
    .max_flat_workgroup_size: 231
    .name:           bluestein_single_fwd_len1848_dim1_dp_op_CI_CI
    .private_segment_fixed_size: 448
    .sgpr_count:     56
    .sgpr_spill_count: 0
    .symbol:         bluestein_single_fwd_len1848_dim1_dp_op_CI_CI.kd
    .uniform_work_group_size: 1
    .uses_dynamic_stack: false
    .vgpr_count:     256
    .vgpr_spill_count: 144
    .wavefront_size: 64
amdhsa.target:   amdgcn-amd-amdhsa--gfx906
amdhsa.version:
  - 1
  - 2
...

	.end_amdgpu_metadata
